;; amdgpu-corpus repo=ROCm/rocFFT kind=compiled arch=gfx1201 opt=O3
	.text
	.amdgcn_target "amdgcn-amd-amdhsa--gfx1201"
	.amdhsa_code_object_version 6
	.protected	fft_rtc_back_len320_factors_10_4_4_2_wgs_64_tpt_16_halfLds_half_ip_CI_sbrr_dirReg ; -- Begin function fft_rtc_back_len320_factors_10_4_4_2_wgs_64_tpt_16_halfLds_half_ip_CI_sbrr_dirReg
	.globl	fft_rtc_back_len320_factors_10_4_4_2_wgs_64_tpt_16_halfLds_half_ip_CI_sbrr_dirReg
	.p2align	8
	.type	fft_rtc_back_len320_factors_10_4_4_2_wgs_64_tpt_16_halfLds_half_ip_CI_sbrr_dirReg,@function
fft_rtc_back_len320_factors_10_4_4_2_wgs_64_tpt_16_halfLds_half_ip_CI_sbrr_dirReg: ; @fft_rtc_back_len320_factors_10_4_4_2_wgs_64_tpt_16_halfLds_half_ip_CI_sbrr_dirReg
; %bb.0:
	s_clause 0x2
	s_load_b64 s[12:13], s[0:1], 0x18
	s_load_b128 s[4:7], s[0:1], 0x0
	s_load_b64 s[10:11], s[0:1], 0x50
	v_lshrrev_b32_e32 v10, 4, v0
	v_mov_b32_e32 v3, 0
	v_mov_b32_e32 v1, 0
	;; [unrolled: 1-line block ×3, first 2 shown]
	s_delay_alu instid0(VALU_DEP_4) | instskip(NEXT) | instid1(VALU_DEP_4)
	v_lshl_or_b32 v5, ttmp9, 2, v10
	v_mov_b32_e32 v6, v3
	s_wait_kmcnt 0x0
	s_load_b64 s[8:9], s[12:13], 0x0
	v_cmp_lt_u64_e64 s2, s[6:7], 2
	s_delay_alu instid0(VALU_DEP_1)
	s_and_b32 vcc_lo, exec_lo, s2
	s_cbranch_vccnz .LBB0_8
; %bb.1:
	s_load_b64 s[2:3], s[0:1], 0x10
	v_mov_b32_e32 v1, 0
	v_mov_b32_e32 v2, 0
	s_add_nc_u64 s[14:15], s[12:13], 8
	s_mov_b64 s[16:17], 1
	s_wait_kmcnt 0x0
	s_add_nc_u64 s[18:19], s[2:3], 8
	s_mov_b32 s3, 0
.LBB0_2:                                ; =>This Inner Loop Header: Depth=1
	s_load_b64 s[20:21], s[18:19], 0x0
                                        ; implicit-def: $vgpr7_vgpr8
	s_mov_b32 s2, exec_lo
	s_wait_kmcnt 0x0
	v_or_b32_e32 v4, s21, v6
	s_delay_alu instid0(VALU_DEP_1)
	v_cmpx_ne_u64_e32 0, v[3:4]
	s_wait_alu 0xfffe
	s_xor_b32 s22, exec_lo, s2
	s_cbranch_execz .LBB0_4
; %bb.3:                                ;   in Loop: Header=BB0_2 Depth=1
	s_cvt_f32_u32 s2, s20
	s_cvt_f32_u32 s23, s21
	s_sub_nc_u64 s[26:27], 0, s[20:21]
	s_wait_alu 0xfffe
	s_delay_alu instid0(SALU_CYCLE_1) | instskip(SKIP_1) | instid1(SALU_CYCLE_2)
	s_fmamk_f32 s2, s23, 0x4f800000, s2
	s_wait_alu 0xfffe
	v_s_rcp_f32 s2, s2
	s_delay_alu instid0(TRANS32_DEP_1) | instskip(SKIP_1) | instid1(SALU_CYCLE_2)
	s_mul_f32 s2, s2, 0x5f7ffffc
	s_wait_alu 0xfffe
	s_mul_f32 s23, s2, 0x2f800000
	s_wait_alu 0xfffe
	s_delay_alu instid0(SALU_CYCLE_2) | instskip(SKIP_1) | instid1(SALU_CYCLE_2)
	s_trunc_f32 s23, s23
	s_wait_alu 0xfffe
	s_fmamk_f32 s2, s23, 0xcf800000, s2
	s_cvt_u32_f32 s25, s23
	s_wait_alu 0xfffe
	s_delay_alu instid0(SALU_CYCLE_1) | instskip(SKIP_1) | instid1(SALU_CYCLE_2)
	s_cvt_u32_f32 s24, s2
	s_wait_alu 0xfffe
	s_mul_u64 s[28:29], s[26:27], s[24:25]
	s_wait_alu 0xfffe
	s_mul_hi_u32 s31, s24, s29
	s_mul_i32 s30, s24, s29
	s_mul_hi_u32 s2, s24, s28
	s_mul_i32 s33, s25, s28
	s_wait_alu 0xfffe
	s_add_nc_u64 s[30:31], s[2:3], s[30:31]
	s_mul_hi_u32 s23, s25, s28
	s_mul_hi_u32 s34, s25, s29
	s_add_co_u32 s2, s30, s33
	s_wait_alu 0xfffe
	s_add_co_ci_u32 s2, s31, s23
	s_mul_i32 s28, s25, s29
	s_add_co_ci_u32 s29, s34, 0
	s_wait_alu 0xfffe
	s_add_nc_u64 s[28:29], s[2:3], s[28:29]
	s_wait_alu 0xfffe
	v_add_co_u32 v4, s2, s24, s28
	s_delay_alu instid0(VALU_DEP_1) | instskip(SKIP_1) | instid1(VALU_DEP_1)
	s_cmp_lg_u32 s2, 0
	s_add_co_ci_u32 s25, s25, s29
	v_readfirstlane_b32 s24, v4
	s_wait_alu 0xfffe
	s_delay_alu instid0(VALU_DEP_1)
	s_mul_u64 s[26:27], s[26:27], s[24:25]
	s_wait_alu 0xfffe
	s_mul_hi_u32 s29, s24, s27
	s_mul_i32 s28, s24, s27
	s_mul_hi_u32 s2, s24, s26
	s_mul_i32 s30, s25, s26
	s_wait_alu 0xfffe
	s_add_nc_u64 s[28:29], s[2:3], s[28:29]
	s_mul_hi_u32 s23, s25, s26
	s_mul_hi_u32 s24, s25, s27
	s_wait_alu 0xfffe
	s_add_co_u32 s2, s28, s30
	s_add_co_ci_u32 s2, s29, s23
	s_mul_i32 s26, s25, s27
	s_add_co_ci_u32 s27, s24, 0
	s_wait_alu 0xfffe
	s_add_nc_u64 s[26:27], s[2:3], s[26:27]
	s_wait_alu 0xfffe
	v_add_co_u32 v4, s2, v4, s26
	s_delay_alu instid0(VALU_DEP_1) | instskip(SKIP_1) | instid1(VALU_DEP_1)
	s_cmp_lg_u32 s2, 0
	s_add_co_ci_u32 s2, s25, s27
	v_mul_hi_u32 v9, v5, v4
	s_wait_alu 0xfffe
	v_mad_co_u64_u32 v[7:8], null, v5, s2, 0
	v_mad_co_u64_u32 v[11:12], null, v6, v4, 0
	;; [unrolled: 1-line block ×3, first 2 shown]
	s_delay_alu instid0(VALU_DEP_3) | instskip(SKIP_1) | instid1(VALU_DEP_4)
	v_add_co_u32 v4, vcc_lo, v9, v7
	s_wait_alu 0xfffd
	v_add_co_ci_u32_e32 v7, vcc_lo, 0, v8, vcc_lo
	s_delay_alu instid0(VALU_DEP_2) | instskip(SKIP_1) | instid1(VALU_DEP_2)
	v_add_co_u32 v4, vcc_lo, v4, v11
	s_wait_alu 0xfffd
	v_add_co_ci_u32_e32 v4, vcc_lo, v7, v12, vcc_lo
	s_wait_alu 0xfffd
	v_add_co_ci_u32_e32 v7, vcc_lo, 0, v14, vcc_lo
	s_delay_alu instid0(VALU_DEP_2) | instskip(SKIP_1) | instid1(VALU_DEP_2)
	v_add_co_u32 v4, vcc_lo, v4, v13
	s_wait_alu 0xfffd
	v_add_co_ci_u32_e32 v9, vcc_lo, 0, v7, vcc_lo
	s_delay_alu instid0(VALU_DEP_2) | instskip(SKIP_1) | instid1(VALU_DEP_3)
	v_mul_lo_u32 v11, s21, v4
	v_mad_co_u64_u32 v[7:8], null, s20, v4, 0
	v_mul_lo_u32 v12, s20, v9
	s_delay_alu instid0(VALU_DEP_2) | instskip(NEXT) | instid1(VALU_DEP_2)
	v_sub_co_u32 v7, vcc_lo, v5, v7
	v_add3_u32 v8, v8, v12, v11
	s_delay_alu instid0(VALU_DEP_1) | instskip(SKIP_1) | instid1(VALU_DEP_1)
	v_sub_nc_u32_e32 v11, v6, v8
	s_wait_alu 0xfffd
	v_subrev_co_ci_u32_e64 v11, s2, s21, v11, vcc_lo
	v_add_co_u32 v12, s2, v4, 2
	s_wait_alu 0xf1ff
	v_add_co_ci_u32_e64 v13, s2, 0, v9, s2
	v_sub_co_u32 v14, s2, v7, s20
	v_sub_co_ci_u32_e32 v8, vcc_lo, v6, v8, vcc_lo
	s_wait_alu 0xf1ff
	v_subrev_co_ci_u32_e64 v11, s2, 0, v11, s2
	s_delay_alu instid0(VALU_DEP_3) | instskip(NEXT) | instid1(VALU_DEP_3)
	v_cmp_le_u32_e32 vcc_lo, s20, v14
	v_cmp_eq_u32_e64 s2, s21, v8
	s_wait_alu 0xfffd
	v_cndmask_b32_e64 v14, 0, -1, vcc_lo
	v_cmp_le_u32_e32 vcc_lo, s21, v11
	s_wait_alu 0xfffd
	v_cndmask_b32_e64 v15, 0, -1, vcc_lo
	v_cmp_le_u32_e32 vcc_lo, s20, v7
	;; [unrolled: 3-line block ×3, first 2 shown]
	s_wait_alu 0xfffd
	v_cndmask_b32_e64 v16, 0, -1, vcc_lo
	v_cmp_eq_u32_e32 vcc_lo, s21, v11
	s_wait_alu 0xf1ff
	s_delay_alu instid0(VALU_DEP_2)
	v_cndmask_b32_e64 v7, v16, v7, s2
	s_wait_alu 0xfffd
	v_cndmask_b32_e32 v11, v15, v14, vcc_lo
	v_add_co_u32 v14, vcc_lo, v4, 1
	s_wait_alu 0xfffd
	v_add_co_ci_u32_e32 v15, vcc_lo, 0, v9, vcc_lo
	s_delay_alu instid0(VALU_DEP_3) | instskip(SKIP_1) | instid1(VALU_DEP_2)
	v_cmp_ne_u32_e32 vcc_lo, 0, v11
	s_wait_alu 0xfffd
	v_dual_cndmask_b32 v8, v15, v13 :: v_dual_cndmask_b32 v11, v14, v12
	v_cmp_ne_u32_e32 vcc_lo, 0, v7
	s_wait_alu 0xfffd
	s_delay_alu instid0(VALU_DEP_2)
	v_dual_cndmask_b32 v8, v9, v8 :: v_dual_cndmask_b32 v7, v4, v11
.LBB0_4:                                ;   in Loop: Header=BB0_2 Depth=1
	s_wait_alu 0xfffe
	s_and_not1_saveexec_b32 s2, s22
	s_cbranch_execz .LBB0_6
; %bb.5:                                ;   in Loop: Header=BB0_2 Depth=1
	v_cvt_f32_u32_e32 v4, s20
	s_sub_co_i32 s22, 0, s20
	s_delay_alu instid0(VALU_DEP_1) | instskip(NEXT) | instid1(TRANS32_DEP_1)
	v_rcp_iflag_f32_e32 v4, v4
	v_mul_f32_e32 v4, 0x4f7ffffe, v4
	s_delay_alu instid0(VALU_DEP_1) | instskip(SKIP_1) | instid1(VALU_DEP_1)
	v_cvt_u32_f32_e32 v4, v4
	s_wait_alu 0xfffe
	v_mul_lo_u32 v7, s22, v4
	s_delay_alu instid0(VALU_DEP_1) | instskip(NEXT) | instid1(VALU_DEP_1)
	v_mul_hi_u32 v7, v4, v7
	v_add_nc_u32_e32 v4, v4, v7
	s_delay_alu instid0(VALU_DEP_1) | instskip(NEXT) | instid1(VALU_DEP_1)
	v_mul_hi_u32 v4, v5, v4
	v_mul_lo_u32 v7, v4, s20
	v_add_nc_u32_e32 v8, 1, v4
	s_delay_alu instid0(VALU_DEP_2) | instskip(NEXT) | instid1(VALU_DEP_1)
	v_sub_nc_u32_e32 v7, v5, v7
	v_subrev_nc_u32_e32 v9, s20, v7
	v_cmp_le_u32_e32 vcc_lo, s20, v7
	s_wait_alu 0xfffd
	s_delay_alu instid0(VALU_DEP_2) | instskip(NEXT) | instid1(VALU_DEP_1)
	v_dual_cndmask_b32 v7, v7, v9 :: v_dual_cndmask_b32 v4, v4, v8
	v_cmp_le_u32_e32 vcc_lo, s20, v7
	s_delay_alu instid0(VALU_DEP_2) | instskip(SKIP_1) | instid1(VALU_DEP_1)
	v_add_nc_u32_e32 v8, 1, v4
	s_wait_alu 0xfffd
	v_dual_cndmask_b32 v7, v4, v8 :: v_dual_mov_b32 v8, v3
.LBB0_6:                                ;   in Loop: Header=BB0_2 Depth=1
	s_wait_alu 0xfffe
	s_or_b32 exec_lo, exec_lo, s2
	s_load_b64 s[22:23], s[14:15], 0x0
	s_delay_alu instid0(VALU_DEP_1)
	v_mul_lo_u32 v4, v8, s20
	v_mul_lo_u32 v9, v7, s21
	v_mad_co_u64_u32 v[11:12], null, v7, s20, 0
	s_add_nc_u64 s[16:17], s[16:17], 1
	s_add_nc_u64 s[14:15], s[14:15], 8
	s_wait_alu 0xfffe
	v_cmp_ge_u64_e64 s2, s[16:17], s[6:7]
	s_add_nc_u64 s[18:19], s[18:19], 8
	s_delay_alu instid0(VALU_DEP_2) | instskip(NEXT) | instid1(VALU_DEP_3)
	v_add3_u32 v4, v12, v9, v4
	v_sub_co_u32 v5, vcc_lo, v5, v11
	s_wait_alu 0xfffd
	s_delay_alu instid0(VALU_DEP_2) | instskip(SKIP_3) | instid1(VALU_DEP_2)
	v_sub_co_ci_u32_e32 v4, vcc_lo, v6, v4, vcc_lo
	s_and_b32 vcc_lo, exec_lo, s2
	s_wait_kmcnt 0x0
	v_mul_lo_u32 v6, s23, v5
	v_mul_lo_u32 v4, s22, v4
	v_mad_co_u64_u32 v[1:2], null, s22, v5, v[1:2]
	s_delay_alu instid0(VALU_DEP_1)
	v_add3_u32 v2, v6, v2, v4
	s_wait_alu 0xfffe
	s_cbranch_vccnz .LBB0_9
; %bb.7:                                ;   in Loop: Header=BB0_2 Depth=1
	v_dual_mov_b32 v5, v7 :: v_dual_mov_b32 v6, v8
	s_branch .LBB0_2
.LBB0_8:
	v_dual_mov_b32 v8, v6 :: v_dual_mov_b32 v7, v5
.LBB0_9:
	s_lshl_b64 s[2:3], s[6:7], 3
	v_and_b32_e32 v28, 15, v0
	s_wait_alu 0xfffe
	s_add_nc_u64 s[2:3], s[12:13], s[2:3]
                                        ; implicit-def: $vgpr6
                                        ; implicit-def: $vgpr9
                                        ; implicit-def: $vgpr11
                                        ; implicit-def: $vgpr5
                                        ; implicit-def: $vgpr13
	s_load_b64 s[2:3], s[2:3], 0x0
	s_load_b64 s[0:1], s[0:1], 0x20
	v_or_b32_e32 v25, 16, v28
	v_or_b32_e32 v23, 0x50, v28
	;; [unrolled: 1-line block ×9, first 2 shown]
	s_wait_kmcnt 0x0
	v_mul_lo_u32 v3, s2, v8
	v_mul_lo_u32 v4, s3, v7
	v_mad_co_u64_u32 v[0:1], null, s2, v7, v[1:2]
	v_cmp_gt_u64_e32 vcc_lo, s[0:1], v[7:8]
	v_cmp_le_u64_e64 s0, s[0:1], v[7:8]
                                        ; implicit-def: $vgpr2
                                        ; implicit-def: $vgpr7
	s_delay_alu instid0(VALU_DEP_3) | instskip(NEXT) | instid1(VALU_DEP_2)
	v_add3_u32 v1, v4, v1, v3
                                        ; implicit-def: $vgpr3
                                        ; implicit-def: $vgpr4
	s_and_saveexec_b32 s1, s0
	s_wait_alu 0xfffe
	s_xor_b32 s0, exec_lo, s1
; %bb.10:
	v_or_b32_e32 v2, 16, v28
	v_or_b32_e32 v6, 0x50, v28
	;; [unrolled: 1-line block ×9, first 2 shown]
; %bb.11:
	s_wait_alu 0xfffe
	s_or_saveexec_b32 s1, s0
	v_lshlrev_b64_e32 v[0:1], 2, v[0:1]
	v_or_b32_e32 v34, 0xa0, v28
	v_or_b32_e32 v32, 0xc0, v28
	;; [unrolled: 1-line block ×10, first 2 shown]
                                        ; implicit-def: $vgpr57
                                        ; implicit-def: $vgpr36
                                        ; implicit-def: $vgpr61
                                        ; implicit-def: $vgpr37
                                        ; implicit-def: $vgpr67
                                        ; implicit-def: $vgpr60
                                        ; implicit-def: $vgpr66
                                        ; implicit-def: $vgpr46
                                        ; implicit-def: $vgpr68
                                        ; implicit-def: $vgpr58
                                        ; implicit-def: $vgpr63
                                        ; implicit-def: $vgpr47
                                        ; implicit-def: $vgpr69
                                        ; implicit-def: $vgpr59
                                        ; implicit-def: $vgpr64
                                        ; implicit-def: $vgpr48
                                        ; implicit-def: $vgpr70
                                        ; implicit-def: $vgpr71
                                        ; implicit-def: $vgpr62
                                        ; implicit-def: $vgpr65
                                        ; implicit-def: $vgpr14
                                        ; implicit-def: $vgpr12
                                        ; implicit-def: $vgpr15
                                        ; implicit-def: $vgpr8
                                        ; implicit-def: $vgpr51
                                        ; implicit-def: $vgpr52
                                        ; implicit-def: $vgpr44
                                        ; implicit-def: $vgpr38
                                        ; implicit-def: $vgpr53
                                        ; implicit-def: $vgpr49
                                        ; implicit-def: $vgpr42
                                        ; implicit-def: $vgpr39
                                        ; implicit-def: $vgpr54
                                        ; implicit-def: $vgpr50
                                        ; implicit-def: $vgpr43
                                        ; implicit-def: $vgpr41
                                        ; implicit-def: $vgpr55
                                        ; implicit-def: $vgpr56
                                        ; implicit-def: $vgpr40
                                        ; implicit-def: $vgpr45
	s_wait_alu 0xfffe
	s_xor_b32 exec_lo, exec_lo, s1
	s_cbranch_execz .LBB0_13
; %bb.12:
	v_mad_co_u64_u32 v[2:3], null, s8, v28, 0
	v_mad_co_u64_u32 v[4:5], null, s8, v27, 0
	;; [unrolled: 1-line block ×5, first 2 shown]
	s_delay_alu instid0(VALU_DEP_4) | instskip(NEXT) | instid1(VALU_DEP_4)
	v_mad_co_u64_u32 v[8:9], null, s9, v28, v[3:4]
	v_mov_b32_e32 v3, v7
	v_mad_co_u64_u32 v[13:14], null, s9, v27, v[5:6]
	v_mad_co_u64_u32 v[39:40], null, s8, v30, 0
	s_delay_alu instid0(VALU_DEP_3)
	v_mad_co_u64_u32 v[14:15], null, s9, v24, v[3:4]
	v_mov_b32_e32 v3, v8
	v_mad_co_u64_u32 v[8:9], null, s8, v17, 0
	v_mov_b32_e32 v5, v13
	;; [unrolled: 2-line block ×3, first 2 shown]
	v_mad_co_u64_u32 v[13:14], null, s8, v34, 0
	v_mad_co_u64_u32 v[36:37], null, s9, v17, v[9:10]
	;; [unrolled: 1-line block ×3, first 2 shown]
	v_add_co_u32 v65, s0, s10, v0
	s_delay_alu instid0(VALU_DEP_4) | instskip(SKIP_2) | instid1(VALU_DEP_4)
	v_mad_co_u64_u32 v[14:15], null, s9, v34, v[14:15]
	s_wait_alu 0xf1ff
	v_add_co_ci_u32_e64 v66, s0, s11, v1, s0
	v_mov_b32_e32 v15, v38
	v_lshlrev_b64_e32 v[4:5], 2, v[4:5]
	v_mov_b32_e32 v9, v36
	v_lshlrev_b64_e32 v[11:12], 2, v[11:12]
	v_lshlrev_b64_e32 v[13:14], 2, v[13:14]
	v_mad_co_u64_u32 v[41:42], null, s9, v32, v[15:16]
	v_mov_b32_e32 v15, v40
	v_lshlrev_b64_e32 v[8:9], 2, v[8:9]
	v_mad_co_u64_u32 v[52:53], null, s8, v31, 0
	v_mad_co_u64_u32 v[61:62], null, s8, v18, 0
	s_delay_alu instid0(VALU_DEP_4) | instskip(SKIP_2) | instid1(VALU_DEP_3)
	v_mad_co_u64_u32 v[42:43], null, s9, v30, v[15:16]
	v_mad_co_u64_u32 v[43:44], null, s8, v29, 0
	v_mov_b32_e32 v38, v41
	v_mov_b32_e32 v40, v42
	v_mad_co_u64_u32 v[41:42], null, s8, v19, 0
	s_delay_alu instid0(VALU_DEP_4) | instskip(SKIP_3) | instid1(VALU_DEP_4)
	v_mov_b32_e32 v15, v44
	v_lshlrev_b64_e32 v[2:3], 2, v[2:3]
	v_lshlrev_b64_e32 v[36:37], 2, v[37:38]
	;; [unrolled: 1-line block ×3, first 2 shown]
	v_mad_co_u64_u32 v[44:45], null, s9, v29, v[15:16]
	v_mov_b32_e32 v15, v42
	v_add_co_u32 v2, s0, v65, v2
	s_wait_alu 0xf1ff
	v_add_co_ci_u32_e64 v3, s0, v66, v3, s0
	s_delay_alu instid0(VALU_DEP_3) | instskip(SKIP_3) | instid1(VALU_DEP_3)
	v_mad_co_u64_u32 v[45:46], null, s9, v19, v[15:16]
	v_add_co_u32 v4, s0, v65, v4
	s_wait_alu 0xf1ff
	v_add_co_ci_u32_e64 v5, s0, v66, v5, s0
	v_mov_b32_e32 v42, v45
	v_lshlrev_b64_e32 v[6:7], 2, v[6:7]
	s_delay_alu instid0(VALU_DEP_1) | instskip(SKIP_1) | instid1(VALU_DEP_2)
	v_add_co_u32 v6, s0, v65, v6
	s_wait_alu 0xf1ff
	v_add_co_ci_u32_e64 v7, s0, v66, v7, s0
	v_add_co_u32 v11, s0, v65, v11
	s_wait_alu 0xf1ff
	v_add_co_ci_u32_e64 v12, s0, v66, v12, s0
	;; [unrolled: 3-line block ×6, first 2 shown]
	s_clause 0x7
	global_load_b32 v36, v[2:3], off
	global_load_b32 v37, v[4:5], off
	;; [unrolled: 1-line block ×8, first 2 shown]
	v_mad_co_u64_u32 v[5:6], null, s8, v26, 0
	v_mov_b32_e32 v4, v51
	v_mad_co_u64_u32 v[11:12], null, s8, v23, 0
	v_lshlrev_b64_e32 v[2:3], 2, v[43:44]
	v_mad_co_u64_u32 v[38:39], null, s8, v21, 0
	s_delay_alu instid0(VALU_DEP_4)
	v_mad_co_u64_u32 v[7:8], null, s9, v25, v[4:5]
	v_mov_b32_e32 v4, v6
	v_lshlrev_b64_e32 v[8:9], 2, v[41:42]
	v_add_co_u32 v2, s0, v65, v2
	s_wait_alu 0xf1ff
	v_add_co_ci_u32_e64 v3, s0, v66, v3, s0
	v_mad_co_u64_u32 v[13:14], null, s9, v26, v[4:5]
	v_dual_mov_b32 v4, v12 :: v_dual_mov_b32 v51, v7
	v_add_co_u32 v7, s0, v65, v8
	v_mad_co_u64_u32 v[40:41], null, s8, v16, 0
	s_delay_alu instid0(VALU_DEP_4) | instskip(NEXT) | instid1(VALU_DEP_4)
	v_mov_b32_e32 v6, v13
	v_mad_co_u64_u32 v[12:13], null, s9, v23, v[4:5]
	v_lshlrev_b64_e32 v[14:15], 2, v[50:51]
	s_wait_alu 0xf1ff
	v_add_co_ci_u32_e64 v8, s0, v66, v9, s0
	v_lshlrev_b64_e32 v[4:5], 2, v[5:6]
	v_dual_mov_b32 v6, v39 :: v_dual_mov_b32 v9, v53
	s_delay_alu instid0(VALU_DEP_4) | instskip(SKIP_1) | instid1(VALU_DEP_3)
	v_add_co_u32 v13, s0, v65, v14
	v_lshlrev_b64_e32 v[11:12], 2, v[11:12]
	v_mad_co_u64_u32 v[42:43], null, s9, v21, v[6:7]
	v_mov_b32_e32 v6, v41
	s_wait_alu 0xf1ff
	v_add_co_ci_u32_e64 v14, s0, v66, v15, s0
	v_add_co_u32 v4, s0, v65, v4
	v_mad_co_u64_u32 v[43:44], null, s8, v35, 0
	v_mov_b32_e32 v39, v42
	s_wait_alu 0xf1ff
	v_add_co_ci_u32_e64 v5, s0, v66, v5, s0
	v_mad_co_u64_u32 v[49:50], null, s9, v16, v[6:7]
	v_add_co_u32 v50, s0, v65, v11
	s_wait_alu 0xf1ff
	v_add_co_ci_u32_e64 v51, s0, v66, v12, s0
	v_lshlrev_b64_e32 v[11:12], 2, v[38:39]
	v_mad_co_u64_u32 v[38:39], null, s8, v33, 0
	v_dual_mov_b32 v6, v44 :: v_dual_mov_b32 v41, v49
	s_delay_alu instid0(VALU_DEP_3) | instskip(NEXT) | instid1(VALU_DEP_2)
	v_add_co_u32 v54, s0, v65, v11
	v_mad_co_u64_u32 v[44:45], null, s9, v35, v[6:7]
	s_delay_alu instid0(VALU_DEP_4) | instskip(SKIP_3) | instid1(VALU_DEP_3)
	v_mov_b32_e32 v6, v39
	s_wait_alu 0xf1ff
	v_add_co_ci_u32_e64 v55, s0, v66, v12, s0
	v_lshlrev_b64_e32 v[11:12], 2, v[40:41]
	v_mad_co_u64_u32 v[39:40], null, s9, v33, v[6:7]
	v_mad_co_u64_u32 v[40:41], null, s8, v20, 0
	s_delay_alu instid0(VALU_DEP_3) | instskip(SKIP_1) | instid1(VALU_DEP_4)
	v_add_co_u32 v63, s0, v65, v11
	s_wait_alu 0xf1ff
	v_add_co_ci_u32_e64 v64, s0, v66, v12, s0
	v_lshlrev_b64_e32 v[11:12], 2, v[43:44]
	s_delay_alu instid0(VALU_DEP_4) | instskip(NEXT) | instid1(VALU_DEP_1)
	v_mov_b32_e32 v6, v41
	v_mad_co_u64_u32 v[41:42], null, s9, v20, v[6:7]
	v_mov_b32_e32 v6, v62
	v_mad_co_u64_u32 v[56:57], null, s9, v31, v[9:10]
	v_add_co_u32 v42, s0, v65, v11
	s_wait_alu 0xf1ff
	v_add_co_ci_u32_e64 v43, s0, v66, v12, s0
	v_lshlrev_b64_e32 v[11:12], 2, v[38:39]
	v_mad_co_u64_u32 v[38:39], null, s9, v18, v[6:7]
	v_mov_b32_e32 v53, v56
	v_dual_mov_b32 v9, v21 :: v_dual_mov_b32 v6, v23
	s_delay_alu instid0(VALU_DEP_4)
	v_add_co_u32 v56, s0, v65, v11
	s_wait_alu 0xf1ff
	v_add_co_ci_u32_e64 v57, s0, v66, v12, s0
	v_mov_b32_e32 v62, v38
	v_lshlrev_b64_e32 v[44:45], 2, v[52:53]
	v_lshlrev_b64_e32 v[11:12], 2, v[40:41]
	s_delay_alu instid0(VALU_DEP_3) | instskip(NEXT) | instid1(VALU_DEP_3)
	v_lshlrev_b64_e32 v[38:39], 2, v[61:62]
	v_add_co_u32 v40, s0, v65, v44
	s_wait_alu 0xf1ff
	s_delay_alu instid0(VALU_DEP_4) | instskip(NEXT) | instid1(VALU_DEP_4)
	v_add_co_ci_u32_e64 v41, s0, v66, v45, s0
	v_add_co_u32 v44, s0, v65, v11
	s_wait_alu 0xf1ff
	v_add_co_ci_u32_e64 v45, s0, v66, v12, s0
	v_add_co_u32 v61, s0, v65, v38
	s_wait_alu 0xf1ff
	v_add_co_ci_u32_e64 v62, s0, v66, v39, s0
	s_clause 0xb
	global_load_b32 v71, v[2:3], off
	global_load_b32 v65, v[7:8], off
	;; [unrolled: 1-line block ×12, first 2 shown]
	v_dual_mov_b32 v13, v16 :: v_dual_mov_b32 v4, v26
	v_mov_b32_e32 v5, v24
	v_dual_mov_b32 v11, v17 :: v_dual_mov_b32 v2, v25
	v_mov_b32_e32 v3, v27
	v_mov_b32_e32 v7, v22
	s_wait_loadcnt 0x13
	v_lshrrev_b32_e32 v57, 16, v36
	s_wait_loadcnt 0x12
	v_lshrrev_b32_e32 v61, 16, v37
	;; [unrolled: 2-line block ×20, first 2 shown]
.LBB0_13:
	s_or_b32 exec_lo, exec_lo, s1
	v_add_f16_e32 v72, v58, v59
	v_add_f16_e32 v73, v36, v60
	v_sub_f16_e32 v74, v67, v70
	v_add_f16_e32 v78, v60, v71
	v_sub_f16_e32 v75, v68, v69
	v_fma_f16 v72, -0.5, v72, v36
	v_add_f16_e32 v73, v73, v58
	v_add_f16_e32 v81, v57, v67
	v_fmac_f16_e32 v36, -0.5, v78
	v_sub_f16_e32 v76, v60, v58
	v_fmamk_f16 v79, v74, 0xbb9c, v72
	v_fmac_f16_e32 v72, 0x3b9c, v74
	v_sub_f16_e32 v77, v71, v59
	v_add_f16_e32 v73, v73, v59
	v_fmamk_f16 v78, v75, 0x3b9c, v36
	v_fmac_f16_e32 v79, 0xb8b4, v75
	v_fmac_f16_e32 v72, 0x38b4, v75
	;; [unrolled: 1-line block ×3, first 2 shown]
	v_add_f16_e32 v75, v81, v68
	v_sub_f16_e32 v80, v58, v60
	v_add_f16_e32 v76, v76, v77
	v_sub_f16_e32 v77, v59, v71
	v_add_f16_e32 v73, v73, v71
	v_add_f16_e32 v82, v68, v69
	v_sub_f16_e32 v60, v60, v71
	v_add_f16_e32 v71, v75, v69
	v_add_f16_e32 v75, v67, v70
	;; [unrolled: 1-line block ×3, first 2 shown]
	v_fma_f16 v80, -0.5, v82, v57
	v_sub_f16_e32 v58, v58, v59
	v_fmac_f16_e32 v79, 0x34f2, v76
	v_fmac_f16_e32 v57, -0.5, v75
	v_fmac_f16_e32 v78, 0xb8b4, v74
	v_fmac_f16_e32 v72, 0x34f2, v76
	;; [unrolled: 1-line block ×3, first 2 shown]
	v_fmamk_f16 v74, v60, 0x3b9c, v80
	v_sub_f16_e32 v59, v67, v68
	v_sub_f16_e32 v76, v70, v69
	v_fmac_f16_e32 v80, 0xbb9c, v60
	v_fmamk_f16 v75, v58, 0xbb9c, v57
	v_sub_f16_e32 v67, v68, v67
	v_sub_f16_e32 v68, v69, v70
	v_fmac_f16_e32 v57, 0x3b9c, v58
	v_fmac_f16_e32 v74, 0x38b4, v58
	v_add_f16_e32 v59, v59, v76
	v_fmac_f16_e32 v80, 0xb8b4, v58
	v_fmac_f16_e32 v75, 0x38b4, v60
	v_add_f16_e32 v67, v67, v68
	v_add_f16_e32 v68, v47, v48
	v_fmac_f16_e32 v57, 0xb8b4, v60
	v_add_f16_e32 v60, v46, v65
	v_fmac_f16_e32 v74, 0x34f2, v59
	;; [unrolled: 2-line block ×3, first 2 shown]
	v_fmac_f16_e32 v75, 0x34f2, v67
	v_fma_f16 v59, -0.5, v68, v37
	v_sub_f16_e32 v68, v66, v62
	v_fmac_f16_e32 v57, 0x34f2, v67
	v_sub_f16_e32 v67, v63, v64
	v_fmac_f16_e32 v37, -0.5, v60
	v_add_f16_e32 v58, v69, v47
	v_fmamk_f16 v60, v68, 0xbb9c, v59
	v_fmac_f16_e32 v59, 0x3b9c, v68
	v_fmac_f16_e32 v78, 0x34f2, v77
	v_fmamk_f16 v76, v67, 0x3b9c, v37
	v_fmac_f16_e32 v37, 0xbb9c, v67
	v_fmac_f16_e32 v36, 0x34f2, v77
	v_add_f16_e32 v71, v71, v70
	v_add_f16_e32 v58, v58, v48
	v_sub_f16_e32 v69, v46, v47
	v_sub_f16_e32 v70, v65, v48
	;; [unrolled: 1-line block ×4, first 2 shown]
	v_fmac_f16_e32 v60, 0xb8b4, v67
	v_fmac_f16_e32 v59, 0x38b4, v67
	;; [unrolled: 1-line block ×3, first 2 shown]
	v_add_f16_e32 v67, v63, v64
	v_fmac_f16_e32 v37, 0x38b4, v68
	v_add_f16_e32 v68, v66, v62
	v_add_f16_e32 v58, v58, v65
	;; [unrolled: 1-line block ×4, first 2 shown]
	v_fma_f16 v67, -0.5, v67, v61
	v_sub_f16_e32 v46, v46, v65
	v_add_f16_e32 v65, v61, v66
	v_sub_f16_e32 v47, v47, v48
	v_fmac_f16_e32 v61, -0.5, v68
	v_fmac_f16_e32 v76, 0x34f2, v70
	v_fmac_f16_e32 v37, 0x34f2, v70
	v_sub_f16_e32 v68, v66, v63
	v_sub_f16_e32 v66, v63, v66
	v_fmamk_f16 v70, v47, 0xbb9c, v61
	v_sub_f16_e32 v77, v64, v62
	v_fmac_f16_e32 v60, 0x34f2, v69
	v_fmac_f16_e32 v59, 0x34f2, v69
	v_fmamk_f16 v48, v46, 0x3b9c, v67
	v_sub_f16_e32 v69, v62, v64
	v_fmac_f16_e32 v61, 0x3b9c, v47
	v_fmac_f16_e32 v70, 0x38b4, v46
	v_add_f16_e32 v66, v66, v77
	v_fmac_f16_e32 v48, 0x38b4, v47
	v_add_f16_e32 v68, v68, v69
	v_fmac_f16_e32 v61, 0xb8b4, v46
	v_fmac_f16_e32 v67, 0xbb9c, v46
	;; [unrolled: 1-line block ×3, first 2 shown]
	v_add_f16_e32 v46, v65, v63
	v_fmac_f16_e32 v48, 0x34f2, v68
	v_fmac_f16_e32 v61, 0x34f2, v66
	;; [unrolled: 1-line block ×3, first 2 shown]
	v_mul_f16_e32 v63, 0xbb9c, v70
	v_add_f16_e32 v46, v46, v64
	v_mul_f16_e32 v47, 0xb8b4, v48
	v_mul_f16_e32 v64, 0xbb9c, v61
	v_fmac_f16_e32 v67, 0x34f2, v68
	v_fmac_f16_e32 v63, 0x34f2, v76
	v_mul_f16_e32 v48, 0x3a79, v48
	v_mul_f16_e32 v76, 0x3b9c, v76
	;; [unrolled: 1-line block ×3, first 2 shown]
	v_add_f16_e32 v46, v46, v62
	v_fmac_f16_e32 v64, 0xb4f2, v37
	v_mul_f16_e32 v62, 0xb8b4, v67
	v_add_f16_e32 v65, v73, v58
	v_add_f16_e32 v68, v78, v63
	v_fmac_f16_e32 v48, 0x38b4, v60
	v_fmac_f16_e32 v76, 0x34f2, v70
	;; [unrolled: 1-line block ×3, first 2 shown]
	v_sub_f16_e32 v37, v73, v58
	v_add_f16_e32 v58, v49, v50
	v_sub_f16_e32 v63, v78, v63
	v_add_f16_e32 v78, v52, v56
	v_fmac_f16_e32 v47, 0x3a79, v60
	v_add_f16_e32 v69, v36, v64
	v_fmac_f16_e32 v62, 0xba79, v59
	v_mul_f16_e32 v67, 0xba79, v67
	v_add_f16_e32 v60, v74, v48
	v_add_f16_e32 v70, v75, v76
	v_sub_f16_e32 v36, v36, v64
	v_add_f16_e32 v64, v12, v52
	v_fma_f16 v58, -0.5, v58, v12
	v_sub_f16_e32 v48, v74, v48
	v_sub_f16_e32 v73, v75, v76
	;; [unrolled: 1-line block ×5, first 2 shown]
	v_fmac_f16_e32 v12, -0.5, v78
	v_add_f16_e32 v77, v72, v62
	v_fmac_f16_e32 v67, 0x38b4, v59
	v_add_f16_e32 v81, v57, v61
	v_sub_f16_e32 v62, v72, v62
	v_sub_f16_e32 v72, v51, v55
	;; [unrolled: 1-line block ×3, first 2 shown]
	v_add_f16_e32 v61, v75, v76
	v_fmamk_f16 v75, v74, 0x3b9c, v12
	v_fmac_f16_e32 v12, 0xbb9c, v74
	v_add_f16_e32 v66, v79, v47
	v_add_f16_e32 v59, v71, v46
	;; [unrolled: 1-line block ×3, first 2 shown]
	v_sub_f16_e32 v47, v79, v47
	v_sub_f16_e32 v71, v71, v46
	v_add_f16_e32 v46, v64, v49
	v_fmamk_f16 v64, v72, 0xbb9c, v58
	v_sub_f16_e32 v67, v80, v67
	v_fmac_f16_e32 v58, 0x3b9c, v72
	v_sub_f16_e32 v76, v49, v52
	v_sub_f16_e32 v78, v50, v56
	v_add_f16_e32 v79, v14, v51
	v_add_f16_e32 v80, v53, v54
	v_fmac_f16_e32 v75, 0xb8b4, v72
	v_fmac_f16_e32 v12, 0x38b4, v72
	v_add_f16_e32 v72, v51, v55
	v_add_f16_e32 v46, v46, v50
	v_fmac_f16_e32 v64, 0xb8b4, v74
	v_fmac_f16_e32 v58, 0x38b4, v74
	v_add_f16_e32 v76, v76, v78
	v_add_f16_e32 v74, v79, v53
	v_fma_f16 v78, -0.5, v80, v14
	v_sub_f16_e32 v52, v52, v56
	v_sub_f16_e32 v49, v49, v50
	v_fmac_f16_e32 v14, -0.5, v72
	v_add_f16_e32 v46, v46, v56
	v_fmac_f16_e32 v64, 0x34f2, v61
	v_fmac_f16_e32 v58, 0x34f2, v61
	v_add_f16_e32 v56, v74, v54
	v_fmamk_f16 v61, v52, 0x3b9c, v78
	v_sub_f16_e32 v50, v51, v53
	v_sub_f16_e32 v74, v55, v54
	v_fmac_f16_e32 v78, 0xbb9c, v52
	v_fmamk_f16 v72, v49, 0xbb9c, v14
	v_sub_f16_e32 v51, v53, v51
	v_sub_f16_e32 v53, v54, v55
	v_fmac_f16_e32 v14, 0x3b9c, v49
	v_fmac_f16_e32 v61, 0x38b4, v49
	v_add_f16_e32 v50, v50, v74
	v_fmac_f16_e32 v78, 0xb8b4, v49
	v_fmac_f16_e32 v72, 0x38b4, v52
	v_add_f16_e32 v51, v51, v53
	v_add_f16_e32 v53, v39, v41
	v_fmac_f16_e32 v14, 0xb8b4, v52
	v_add_f16_e32 v52, v38, v45
	v_fmac_f16_e32 v61, 0x34f2, v50
	;; [unrolled: 2-line block ×3, first 2 shown]
	v_fmac_f16_e32 v72, 0x34f2, v51
	v_fma_f16 v50, -0.5, v53, v8
	v_sub_f16_e32 v53, v44, v40
	v_fmac_f16_e32 v14, 0x34f2, v51
	v_sub_f16_e32 v51, v42, v43
	v_fmac_f16_e32 v8, -0.5, v52
	v_add_f16_e32 v49, v54, v39
	v_fmamk_f16 v52, v53, 0xbb9c, v50
	v_fmac_f16_e32 v50, 0x3b9c, v53
	v_fmac_f16_e32 v75, 0x34f2, v76
	v_fmamk_f16 v74, v51, 0x3b9c, v8
	v_fmac_f16_e32 v8, 0xbb9c, v51
	v_fmac_f16_e32 v12, 0x34f2, v76
	v_add_f16_e32 v56, v56, v55
	v_add_f16_e32 v49, v49, v41
	v_sub_f16_e32 v54, v38, v39
	v_sub_f16_e32 v55, v45, v41
	;; [unrolled: 1-line block ×4, first 2 shown]
	v_fmac_f16_e32 v52, 0xb8b4, v51
	v_fmac_f16_e32 v50, 0x38b4, v51
	;; [unrolled: 1-line block ×3, first 2 shown]
	v_add_f16_e32 v51, v42, v43
	v_fmac_f16_e32 v8, 0x38b4, v53
	v_add_f16_e32 v53, v44, v40
	v_add_f16_e32 v49, v49, v45
	;; [unrolled: 1-line block ×4, first 2 shown]
	v_fma_f16 v51, -0.5, v51, v15
	v_sub_f16_e32 v38, v38, v45
	v_add_f16_e32 v45, v15, v44
	v_sub_f16_e32 v39, v39, v41
	v_fmac_f16_e32 v15, -0.5, v53
	v_fmac_f16_e32 v74, 0x34f2, v55
	v_fmac_f16_e32 v8, 0x34f2, v55
	v_sub_f16_e32 v53, v44, v42
	v_sub_f16_e32 v44, v42, v44
	v_fmamk_f16 v55, v39, 0xbb9c, v15
	v_sub_f16_e32 v76, v43, v40
	v_fmac_f16_e32 v15, 0x3b9c, v39
	v_fmac_f16_e32 v52, 0x34f2, v54
	;; [unrolled: 1-line block ×3, first 2 shown]
	v_fmamk_f16 v41, v38, 0x3b9c, v51
	v_sub_f16_e32 v54, v40, v43
	v_add_f16_e32 v44, v44, v76
	v_fmac_f16_e32 v15, 0xb8b4, v38
	v_fmac_f16_e32 v51, 0xbb9c, v38
	;; [unrolled: 1-line block ×3, first 2 shown]
	v_add_f16_e32 v53, v53, v54
	v_fmac_f16_e32 v55, 0x38b4, v38
	v_add_f16_e32 v38, v45, v42
	v_fmac_f16_e32 v15, 0x34f2, v44
	v_fmac_f16_e32 v51, 0xb8b4, v39
	v_mul_u32_u24_e32 v10, 0x140, v10
	v_fmac_f16_e32 v41, 0x34f2, v53
	v_fmac_f16_e32 v55, 0x34f2, v44
	v_add_f16_e32 v38, v38, v43
	v_mul_f16_e32 v43, 0xbb9c, v15
	v_fmac_f16_e32 v51, 0x34f2, v53
	v_mul_f16_e32 v15, 0xb4f2, v15
	v_mul_f16_e32 v39, 0xb8b4, v41
	;; [unrolled: 1-line block ×3, first 2 shown]
	v_add_f16_e32 v38, v38, v40
	v_fmac_f16_e32 v43, 0xb4f2, v8
	v_mul_f16_e32 v40, 0xb8b4, v51
	v_mul_f16_e32 v51, 0xba79, v51
	v_fmac_f16_e32 v15, 0x3b9c, v8
	v_lshlrev_b32_e32 v8, 1, v10
	v_mul_f16_e32 v41, 0x3a79, v41
	v_fmac_f16_e32 v39, 0x3a79, v52
	v_fmac_f16_e32 v42, 0x34f2, v74
	v_add_f16_e32 v44, v46, v49
	v_fmac_f16_e32 v40, 0xba79, v50
	v_fmac_f16_e32 v51, 0x38b4, v50
	v_add_f16_e32 v50, v56, v38
	v_sub_f16_e32 v46, v46, v49
	v_sub_f16_e32 v56, v56, v38
	v_mul_u32_u24_e32 v38, 10, v28
	v_add_nc_u32_e32 v49, 0, v8
	v_fmac_f16_e32 v41, 0x38b4, v52
	v_add_f16_e32 v45, v64, v39
	v_add_f16_e32 v53, v75, v42
	;; [unrolled: 1-line block ×4, first 2 shown]
	v_sub_f16_e32 v39, v64, v39
	v_sub_f16_e32 v64, v14, v15
	v_lshl_add_u32 v14, v38, 1, v49
	v_mul_i32_i24_e32 v38, 10, v2
	v_add_f16_e32 v76, v58, v40
	v_sub_f16_e32 v42, v75, v42
	v_sub_f16_e32 v10, v12, v43
	v_sub_f16_e32 v12, v58, v40
	v_pack_b32_f16 v15, v68, v69
	v_pack_b32_f16 v40, v65, v66
	v_add_f16_e32 v52, v61, v41
	v_sub_f16_e32 v58, v61, v41
	v_pack_b32_f16 v41, v47, v63
	v_pack_b32_f16 v37, v77, v37
	;; [unrolled: 1-line block ×3, first 2 shown]
	v_lshl_add_u32 v62, v38, 1, v49
	v_pack_b32_f16 v38, v53, v54
	v_pack_b32_f16 v43, v44, v45
	;; [unrolled: 1-line block ×5, first 2 shown]
	v_mul_f16_e32 v74, 0x3b9c, v74
	ds_store_2addr_b32 v14, v40, v15 offset1:1
	ds_store_2addr_b32 v14, v37, v41 offset0:2 offset1:3
	ds_store_b32 v14, v36 offset:16
	ds_store_2addr_b32 v62, v43, v38 offset1:1
	ds_store_2addr_b32 v62, v42, v39 offset0:2 offset1:3
	ds_store_b32 v62, v10 offset:16
	v_lshlrev_b32_e32 v10, 1, v28
	v_lshl_add_u32 v39, v3, 1, v49
	v_pack_b32_f16 v15, v70, v81
	v_fmac_f16_e32 v74, 0x34f2, v55
	v_pack_b32_f16 v53, v59, v60
	v_add_nc_u32_e32 v36, v49, v10
	v_add3_u32 v38, 0, v10, v8
	v_add_nc_u32_e32 v54, -10, v28
	v_cmp_gt_u32_e64 s0, 10, v28
	v_lshl_add_u32 v37, v6, 1, v49
	v_lshl_add_u32 v43, v9, 1, v49
	v_pack_b32_f16 v59, v48, v73
	v_pack_b32_f16 v60, v82, v71
	;; [unrolled: 1-line block ×3, first 2 shown]
	v_lshl_add_u32 v40, v4, 1, v49
	v_lshl_add_u32 v44, v11, 1, v49
	v_add_f16_e32 v55, v72, v74
	v_add_f16_e32 v80, v78, v51
	v_sub_f16_e32 v61, v72, v74
	v_sub_f16_e32 v51, v78, v51
	global_wb scope:SCOPE_SE
	s_wait_dscnt 0x0
	s_barrier_signal -1
	s_barrier_wait -1
	global_inv scope:SCOPE_SE
	v_lshl_add_u32 v41, v7, 1, v49
	v_mad_i32_i24 v42, 0xffffffee, v2, v62
	ds_load_u16 v47, v39
	ds_load_u16 v65, v43
	;; [unrolled: 1-line block ×4, first 2 shown]
	ds_load_u16 v69, v38 offset:320
	ds_load_u16 v72, v38 offset:352
	;; [unrolled: 1-line block ×4, first 2 shown]
	v_lshl_add_u32 v45, v5, 1, v49
	v_lshl_add_u32 v46, v13, 1, v49
	ds_load_u16 v76, v38 offset:512
	ds_load_u16 v77, v38 offset:544
	ds_load_u16 v78, v38 offset:576
	ds_load_u16 v12, v40
	ds_load_u16 v83, v44
	;; [unrolled: 1-line block ×4, first 2 shown]
	ds_load_u16 v85, v38 offset:480
	ds_load_u16 v86, v38 offset:448
	ds_load_u16 v87, v41
	ds_load_u16 v49, v42
	ds_load_u16 v88, v38 offset:608
	global_wb scope:SCOPE_SE
	s_wait_dscnt 0x0
	s_barrier_signal -1
	s_barrier_wait -1
	global_inv scope:SCOPE_SE
	s_wait_alu 0xf1ff
	v_cndmask_b32_e64 v48, v54, v28, s0
	ds_store_2addr_b32 v14, v53, v15 offset1:1
	ds_store_2addr_b32 v14, v60, v59 offset0:2 offset1:3
	ds_store_b32 v14, v57 offset:16
	v_mov_b32_e32 v15, 0
	v_and_b32_e32 v53, 0xff, v2
	v_pack_b32_f16 v54, v55, v79
	v_mul_i32_i24_e32 v14, 3, v48
	v_pack_b32_f16 v52, v50, v52
	v_pack_b32_f16 v57, v64, v51
	v_mul_lo_u16 v53, 0xcd, v53
	v_pack_b32_f16 v55, v58, v61
	v_lshlrev_b64_e32 v[50:51], 2, v[14:15]
	v_pack_b32_f16 v56, v80, v56
	ds_store_2addr_b32 v62, v52, v54 offset1:1
	ds_store_2addr_b32 v62, v56, v55 offset0:2 offset1:3
	ds_store_b32 v62, v57 offset:16
	v_lshrrev_b16 v14, 11, v53
	v_and_b32_e32 v54, 0xff, v3
	v_add_co_u32 v50, s0, s4, v50
	s_wait_alu 0xf1ff
	v_add_co_ci_u32_e64 v51, s0, s5, v51, s0
	v_mul_lo_u16 v52, v14, 10
	global_wb scope:SCOPE_SE
	s_wait_dscnt 0x0
	s_barrier_signal -1
	s_barrier_wait -1
	global_inv scope:SCOPE_SE
	v_sub_nc_u16 v53, v2, v52
	global_load_b96 v[50:52], v[50:51], off
	v_and_b32_e32 v57, 0xff, v4
	v_cmp_lt_u32_e64 s0, 9, v28
	v_lshlrev_b32_e32 v48, 1, v48
	v_and_b32_e32 v67, 0xff, v53
	v_mul_lo_u16 v53, 0xcd, v54
	v_mul_lo_u16 v57, 0xcd, v57
	v_and_b32_e32 v14, 0xffff, v14
	s_delay_alu instid0(VALU_DEP_4) | instskip(NEXT) | instid1(VALU_DEP_4)
	v_mul_u32_u24_e32 v54, 3, v67
	v_lshrrev_b16 v70, 11, v53
	s_delay_alu instid0(VALU_DEP_4) | instskip(NEXT) | instid1(VALU_DEP_4)
	v_lshrrev_b16 v73, 11, v57
	v_mad_u32_u24 v14, 0x50, v14, 0
	v_lshlrev_b32_e32 v67, 1, v67
	v_lshlrev_b32_e32 v53, 2, v54
	v_mul_lo_u16 v56, v70, 10
	v_mul_lo_u16 v58, v73, 10
	v_and_b32_e32 v70, 0xffff, v70
	v_and_b32_e32 v73, 0xffff, v73
	global_load_b96 v[53:55], v53, s[4:5]
	v_sub_nc_u16 v56, v3, v56
	v_sub_nc_u16 v59, v4, v58
	v_mad_u32_u24 v70, 0x50, v70, 0
	v_add3_u32 v14, v14, v67, v8
	s_delay_alu instid0(VALU_DEP_4) | instskip(SKIP_2) | instid1(VALU_DEP_3)
	v_and_b32_e32 v71, 0xff, v56
	v_and_b32_e32 v56, 0xff, v5
	v_and_b32_e32 v80, 0xff, v59
	v_mul_u32_u24_e32 v57, 3, v71
	s_delay_alu instid0(VALU_DEP_3) | instskip(NEXT) | instid1(VALU_DEP_3)
	v_mul_lo_u16 v56, 0xcd, v56
	v_mul_u32_u24_e32 v60, 3, v80
	v_lshlrev_b32_e32 v71, 1, v71
	v_lshlrev_b32_e32 v67, 1, v80
	;; [unrolled: 1-line block ×3, first 2 shown]
	v_lshrrev_b16 v79, 11, v56
	v_lshlrev_b32_e32 v60, 2, v60
	global_load_b96 v[56:58], v57, s[4:5]
	v_mul_lo_u16 v59, v79, 10
	s_delay_alu instid0(VALU_DEP_1) | instskip(NEXT) | instid1(VALU_DEP_1)
	v_sub_nc_u16 v59, v5, v59
	v_and_b32_e32 v81, 0xff, v59
	global_load_b96 v[59:61], v60, s[4:5]
	v_mul_u32_u24_e32 v62, 3, v81
	s_delay_alu instid0(VALU_DEP_1)
	v_lshlrev_b32_e32 v62, 2, v62
	global_load_b96 v[62:64], v62, s[4:5]
	ds_load_u16 v82, v37
	ds_load_u16 v89, v38 offset:320
	ds_load_u16 v90, v38 offset:480
	ds_load_u16 v93, v38 offset:352
	ds_load_u16 v94, v38 offset:384
	ds_load_u16 v95, v38 offset:416
	ds_load_u16 v96, v38 offset:448
	ds_load_u16 v97, v36
	ds_load_u16 v99, v41
	s_wait_loadcnt 0x4
	v_lshrrev_b32_e32 v91, 16, v50
	v_lshrrev_b32_e32 v92, 16, v51
	;; [unrolled: 1-line block ×3, first 2 shown]
	s_wait_dscnt 0x8
	s_delay_alu instid0(VALU_DEP_3) | instskip(SKIP_3) | instid1(VALU_DEP_3)
	v_mul_f16_e32 v98, v82, v91
	v_mul_f16_e32 v91, v68, v91
	s_wait_dscnt 0x7
	v_mul_f16_e32 v101, v89, v92
	v_fmac_f16_e32 v98, v68, v50
	s_delay_alu instid0(VALU_DEP_3)
	v_fma_f16 v50, v82, v50, -v91
	ds_load_u16 v91, v38 offset:512
	v_mul_f16_e32 v68, v69, v92
	s_wait_dscnt 0x7
	v_mul_f16_e32 v82, v90, v100
	v_fmac_f16_e32 v101, v69, v51
	v_mul_f16_e32 v69, v85, v100
	v_fma_f16 v51, v89, v51, -v68
	s_delay_alu instid0(VALU_DEP_4)
	v_fmac_f16_e32 v82, v85, v52
	s_wait_loadcnt 0x3
	v_lshrrev_b32_e32 v68, 16, v53
	v_fma_f16 v52, v90, v52, -v69
	v_lshrrev_b32_e32 v69, 16, v54
	ds_load_u16 v85, v43
	ds_load_u16 v89, v38 offset:544
	ds_load_u16 v90, v38 offset:576
	;; [unrolled: 1-line block ×3, first 2 shown]
	ds_load_u16 v100, v39
	ds_load_u16 v102, v42
	v_lshrrev_b32_e32 v105, 16, v55
	s_wait_dscnt 0x7
	v_mul_f16_e32 v103, v99, v68
	v_mul_f16_e32 v68, v87, v68
	;; [unrolled: 1-line block ×4, first 2 shown]
	v_sub_f16_e32 v51, v97, v51
	v_fmac_f16_e32 v103, v87, v53
	v_fma_f16 v53, v99, v53, -v68
	v_fmac_f16_e32 v104, v72, v54
	s_wait_dscnt 0x6
	v_mul_f16_e32 v68, v91, v105
	v_fma_f16 v54, v93, v54, -v69
	v_mul_f16_e32 v69, v76, v105
	ds_load_u16 v93, v44
	v_sub_f16_e32 v52, v50, v52
	v_fmac_f16_e32 v68, v76, v55
	v_sub_f16_e32 v82, v98, v82
	s_wait_loadcnt 0x2
	v_lshrrev_b32_e32 v72, 16, v56
	v_lshrrev_b32_e32 v87, 16, v57
	v_fma_f16 v55, v91, v55, -v69
	v_lshrrev_b32_e32 v91, 16, v58
	v_fma_f16 v50, v50, 2.0, -v52
	s_wait_dscnt 0x6
	v_mul_f16_e32 v69, v85, v72
	v_mul_f16_e32 v72, v65, v72
	;; [unrolled: 1-line block ×4, first 2 shown]
	v_sub_f16_e32 v68, v103, v68
	v_fmac_f16_e32 v69, v65, v56
	v_fma_f16 v56, v85, v56, -v72
	ds_load_u16 v72, v46
	v_fmac_f16_e32 v76, v74, v57
	s_wait_dscnt 0x6
	v_mul_f16_e32 v65, v89, v91
	v_mul_f16_e32 v74, v77, v91
	s_wait_loadcnt 0x1
	v_lshrrev_b32_e32 v85, 16, v59
	v_fma_f16 v57, v94, v57, -v87
	ds_load_u16 v87, v45
	ds_load_u16 v91, v40
	v_fmac_f16_e32 v65, v77, v58
	v_lshrrev_b32_e32 v77, 16, v60
	s_wait_dscnt 0x3
	v_mul_f16_e32 v94, v93, v85
	v_fma_f16 v58, v89, v58, -v74
	v_mul_f16_e32 v74, v83, v85
	v_lshrrev_b32_e32 v89, 16, v61
	v_mul_f16_e32 v85, v95, v77
	v_fmac_f16_e32 v94, v83, v59
	v_mul_f16_e32 v77, v75, v77
	v_fma_f16 v59, v93, v59, -v74
	s_wait_loadcnt 0x0
	v_lshrrev_b32_e32 v74, 16, v62
	v_mul_f16_e32 v83, v90, v89
	v_fmac_f16_e32 v85, v75, v60
	v_fma_f16 v60, v95, v60, -v77
	v_mul_f16_e32 v75, v78, v89
	s_wait_dscnt 0x2
	v_mul_f16_e32 v77, v72, v74
	v_fmac_f16_e32 v83, v78, v61
	v_mul_f16_e32 v74, v84, v74
	v_lshrrev_b32_e32 v78, 16, v63
	v_fma_f16 v61, v90, v61, -v75
	v_fmac_f16_e32 v77, v84, v62
	v_lshrrev_b32_e32 v75, 16, v64
	v_fma_f16 v62, v72, v62, -v74
	v_mul_f16_e32 v72, v96, v78
	v_sub_f16_e32 v74, v66, v101
	v_fma_f16 v84, v97, 2.0, -v51
	v_mul_f16_e32 v78, v86, v78
	v_fma_f16 v89, v98, 2.0, -v82
	v_fmac_f16_e32 v72, v86, v63
	v_fma_f16 v66, v66, 2.0, -v74
	v_mul_f16_e32 v86, v92, v75
	v_mul_f16_e32 v75, v88, v75
	v_sub_f16_e32 v50, v84, v50
	v_fma_f16 v63, v96, v63, -v78
	v_sub_f16_e32 v78, v49, v104
	s_wait_alu 0xf1ff
	v_cndmask_b32_e64 v93, 0, 0x50, s0
	v_sub_f16_e32 v89, v66, v89
	v_fmac_f16_e32 v86, v88, v64
	v_fma_f16 v64, v92, v64, -v75
	v_fma_f16 v75, v84, 2.0, -v50
	v_fma_f16 v49, v49, 2.0, -v78
	;; [unrolled: 1-line block ×3, first 2 shown]
	v_sub_f16_e32 v76, v47, v76
	v_sub_f16_e32 v65, v69, v65
	v_add_nc_u32_e32 v93, 0, v93
	v_add_f16_e32 v52, v74, v52
	v_sub_f16_e32 v55, v53, v55
	v_sub_f16_e32 v85, v12, v85
	;; [unrolled: 1-line block ×3, first 2 shown]
	v_fma_f16 v66, v66, 2.0, -v89
	v_sub_f16_e32 v54, v102, v54
	v_sub_f16_e32 v84, v49, v84
	v_fma_f16 v47, v47, 2.0, -v76
	v_fma_f16 v69, v69, 2.0, -v65
	v_sub_f16_e32 v72, v10, v72
	v_sub_f16_e32 v86, v77, v86
	v_add3_u32 v48, v93, v48, v8
	v_fma_f16 v53, v53, 2.0, -v55
	v_fma_f16 v74, v74, 2.0, -v52
	v_sub_f16_e32 v57, v100, v57
	v_sub_f16_e32 v58, v56, v58
	v_add_f16_e32 v55, v78, v55
	s_wait_dscnt 0x0
	v_sub_f16_e32 v60, v91, v60
	v_sub_f16_e32 v61, v59, v61
	v_fma_f16 v12, v12, 2.0, -v85
	v_fma_f16 v92, v94, 2.0, -v83
	;; [unrolled: 1-line block ×4, first 2 shown]
	v_sub_f16_e32 v69, v47, v69
	v_sub_f16_e32 v64, v62, v64
	v_fma_f16 v10, v10, 2.0, -v72
	v_fma_f16 v77, v77, 2.0, -v86
	global_wb scope:SCOPE_SE
	s_barrier_signal -1
	s_barrier_wait -1
	global_inv scope:SCOPE_SE
	ds_store_b16 v48, v66
	ds_store_b16 v48, v74 offset:20
	ds_store_b16 v48, v89 offset:40
	;; [unrolled: 1-line block ×3, first 2 shown]
	v_add3_u32 v52, v70, v71, v8
	v_mad_u32_u24 v66, 0x50, v73, 0
	v_and_b32_e32 v70, 0xffff, v79
	v_fma_f16 v90, v100, 2.0, -v57
	v_fma_f16 v56, v56, 2.0, -v58
	v_fma_f16 v78, v78, 2.0, -v55
	v_add_f16_e32 v58, v76, v58
	v_fma_f16 v91, v91, 2.0, -v60
	v_fma_f16 v59, v59, 2.0, -v61
	v_sub_f16_e32 v92, v12, v92
	v_sub_f16_e32 v63, v87, v63
	;; [unrolled: 1-line block ×3, first 2 shown]
	v_add_f16_e32 v61, v85, v61
	v_sub_f16_e32 v53, v88, v53
	v_fma_f16 v47, v47, 2.0, -v69
	v_fma_f16 v62, v62, 2.0, -v64
	v_sub_f16_e32 v77, v10, v77
	v_add_f16_e32 v64, v72, v64
	ds_store_b16 v14, v49
	ds_store_b16 v14, v78 offset:20
	ds_store_b16 v14, v84 offset:40
	;; [unrolled: 1-line block ×3, first 2 shown]
	v_add3_u32 v49, v66, v67, v8
	v_mad_u32_u24 v55, 0x50, v70, 0
	v_lshlrev_b32_e32 v66, 1, v81
	v_sub_f16_e32 v68, v54, v68
	v_sub_f16_e32 v56, v90, v56
	;; [unrolled: 1-line block ×3, first 2 shown]
	v_fma_f16 v76, v76, 2.0, -v58
	v_sub_f16_e32 v59, v91, v59
	v_fma_f16 v12, v12, 2.0, -v92
	v_fma_f16 v87, v87, 2.0, -v63
	v_sub_f16_e32 v83, v60, v83
	v_fma_f16 v51, v51, 2.0, -v82
	v_fma_f16 v85, v85, 2.0, -v61
	v_fma_f16 v88, v88, 2.0, -v53
	v_fma_f16 v10, v10, 2.0, -v77
	v_fma_f16 v72, v72, 2.0, -v64
	ds_store_b16 v52, v47
	ds_store_b16 v52, v76 offset:20
	ds_store_b16 v52, v69 offset:40
	;; [unrolled: 1-line block ×3, first 2 shown]
	v_add3_u32 v47, v55, v66, v8
	v_fma_f16 v54, v54, 2.0, -v68
	v_fma_f16 v90, v90, 2.0, -v56
	;; [unrolled: 1-line block ×4, first 2 shown]
	v_sub_f16_e32 v62, v87, v62
	v_fma_f16 v60, v60, 2.0, -v83
	ds_store_b16 v49, v12
	ds_store_b16 v49, v85 offset:20
	ds_store_b16 v49, v92 offset:40
	;; [unrolled: 1-line block ×3, first 2 shown]
	ds_store_b16 v47, v10
	ds_store_b16 v47, v72 offset:20
	ds_store_b16 v47, v77 offset:40
	;; [unrolled: 1-line block ×3, first 2 shown]
	global_wb scope:SCOPE_SE
	s_wait_dscnt 0x0
	s_barrier_signal -1
	s_barrier_wait -1
	global_inv scope:SCOPE_SE
	ds_load_u16 v10, v39
	ds_load_u16 v12, v43
	;; [unrolled: 1-line block ×4, first 2 shown]
	ds_load_u16 v67, v38 offset:320
	ds_load_u16 v69, v38 offset:352
	;; [unrolled: 1-line block ×7, first 2 shown]
	ds_load_u16 v76, v40
	ds_load_u16 v77, v44
	;; [unrolled: 1-line block ×4, first 2 shown]
	ds_load_u16 v80, v38 offset:480
	ds_load_u16 v81, v38 offset:448
	ds_load_u16 v84, v41
	ds_load_u16 v85, v42
	ds_load_u16 v89, v38 offset:608
	global_wb scope:SCOPE_SE
	s_wait_dscnt 0x0
	s_barrier_signal -1
	s_barrier_wait -1
	global_inv scope:SCOPE_SE
	ds_store_b16 v48, v75
	ds_store_b16 v48, v51 offset:20
	ds_store_b16 v48, v50 offset:40
	ds_store_b16 v48, v82 offset:60
	ds_store_b16 v14, v88
	ds_store_b16 v14, v54 offset:20
	ds_store_b16 v14, v53 offset:40
	ds_store_b16 v14, v68 offset:60
	;; [unrolled: 4-line block ×4, first 2 shown]
	v_mul_u32_u24_e32 v14, 3, v28
	v_sub_f16_e32 v86, v63, v86
	v_fma_f16 v87, v87, 2.0, -v62
	v_add_nc_u32_e32 v52, -8, v28
	v_cmp_gt_u32_e64 s0, 40, v3
	v_lshlrev_b32_e32 v59, 2, v14
	v_fma_f16 v63, v63, 2.0, -v86
	v_mul_i32_i24_e32 v14, 3, v2
	ds_store_b16 v47, v87
	ds_store_b16 v47, v63 offset:20
	ds_store_b16 v47, v62 offset:40
	;; [unrolled: 1-line block ×3, first 2 shown]
	global_wb scope:SCOPE_SE
	s_wait_dscnt 0x0
	s_barrier_signal -1
	s_barrier_wait -1
	global_inv scope:SCOPE_SE
	global_load_b96 v[47:49], v59, s[4:5] offset:120
	v_lshlrev_b64_e32 v[50:51], 2, v[14:15]
	s_wait_alu 0xf1ff
	v_cndmask_b32_e64 v62, v52, v3, s0
	s_delay_alu instid0(VALU_DEP_2) | instskip(SKIP_1) | instid1(VALU_DEP_3)
	v_add_co_u32 v50, s0, s4, v50
	s_wait_alu 0xf1ff
	v_add_co_ci_u32_e64 v51, s0, s5, v51, s0
	s_delay_alu instid0(VALU_DEP_3) | instskip(SKIP_2) | instid1(VALU_DEP_1)
	v_mul_i32_i24_e32 v14, 3, v62
	global_load_b96 v[50:52], v[50:51], off offset:120
	v_lshlrev_b64_e32 v[53:54], 2, v[14:15]
	v_add_co_u32 v53, s0, s4, v53
	s_wait_alu 0xf1ff
	s_delay_alu instid0(VALU_DEP_2)
	v_add_co_ci_u32_e64 v54, s0, s5, v54, s0
	s_clause 0x2
	global_load_b96 v[53:55], v[53:54], off offset:120
	global_load_b96 v[56:58], v59, s[4:5] offset:216
	global_load_b96 v[59:61], v59, s[4:5] offset:408
	ds_load_u16 v14, v37
	ds_load_u16 v63, v38 offset:320
	ds_load_u16 v65, v38 offset:480
	;; [unrolled: 1-line block ×6, first 2 shown]
	ds_load_u16 v87, v36
	ds_load_u16 v91, v41
	ds_load_u16 v92, v39
	ds_load_u16 v93, v43
	v_cmp_lt_u32_e64 s0, 39, v3
	s_wait_loadcnt 0x4
	v_lshrrev_b32_e32 v68, 16, v47
	v_lshrrev_b32_e32 v90, 16, v48
	;; [unrolled: 1-line block ×3, first 2 shown]
	s_wait_dscnt 0xa
	s_delay_alu instid0(VALU_DEP_3) | instskip(SKIP_1) | instid1(VALU_DEP_2)
	v_mul_f16_e32 v88, v14, v68
	v_mul_f16_e32 v68, v66, v68
	v_fmac_f16_e32 v88, v66, v47
	s_wait_dscnt 0x9
	v_mul_f16_e32 v66, v63, v90
	s_delay_alu instid0(VALU_DEP_3)
	v_fma_f16 v14, v14, v47, -v68
	v_mul_f16_e32 v47, v67, v90
	s_wait_dscnt 0x8
	v_mul_f16_e32 v68, v65, v94
	ds_load_u16 v90, v38 offset:512
	v_fmac_f16_e32 v66, v67, v48
	s_wait_loadcnt 0x3
	v_lshrrev_b32_e32 v67, 16, v50
	v_mul_f16_e32 v94, v80, v94
	v_fmac_f16_e32 v68, v80, v49
	v_lshrrev_b32_e32 v80, 16, v51
	v_fma_f16 v47, v63, v48, -v47
	s_wait_dscnt 0x3
	v_mul_f16_e32 v96, v91, v67
	v_mul_f16_e32 v67, v84, v67
	v_fma_f16 v49, v65, v49, -v94
	v_mul_f16_e32 v65, v75, v80
	ds_load_u16 v48, v38 offset:544
	ds_load_u16 v63, v38 offset:576
	v_fmac_f16_e32 v96, v84, v50
	v_fma_f16 v50, v91, v50, -v67
	v_mul_f16_e32 v67, v69, v80
	ds_load_u16 v95, v42
	v_lshrrev_b32_e32 v94, 16, v52
	v_fmac_f16_e32 v65, v69, v51
	ds_load_u16 v69, v38 offset:608
	v_fma_f16 v51, v75, v51, -v67
	ds_load_u16 v67, v40
	ds_load_u16 v75, v44
	s_wait_dscnt 0x6
	v_mul_f16_e32 v80, v90, v94
	s_wait_loadcnt 0x2
	v_lshrrev_b32_e32 v84, 16, v53
	v_mul_f16_e32 v91, v72, v94
	v_lshrrev_b32_e32 v94, 16, v54
	v_sub_f16_e32 v66, v64, v66
	v_fmac_f16_e32 v80, v72, v52
	v_mul_f16_e32 v72, v93, v84
	v_fma_f16 v52, v90, v52, -v91
	v_mul_f16_e32 v84, v12, v84
	v_mul_f16_e32 v90, v82, v94
	v_lshrrev_b32_e32 v91, 16, v55
	v_fmac_f16_e32 v72, v12, v53
	ds_load_u16 v12, v45
	ds_load_u16 v97, v46
	v_mul_f16_e32 v94, v70, v94
	v_fma_f16 v53, v93, v53, -v84
	v_fmac_f16_e32 v90, v70, v54
	s_wait_dscnt 0x7
	v_mul_f16_e32 v70, v48, v91
	s_wait_loadcnt 0x1
	v_lshrrev_b32_e32 v84, 16, v56
	v_mul_f16_e32 v91, v73, v91
	v_fma_f16 v54, v82, v54, -v94
	v_lshrrev_b32_e32 v82, 16, v57
	v_fmac_f16_e32 v70, v73, v55
	s_wait_dscnt 0x2
	v_mul_f16_e32 v73, v75, v84
	v_mul_f16_e32 v84, v77, v84
	v_fma_f16 v48, v48, v55, -v91
	v_mul_f16_e32 v55, v83, v82
	v_lshrrev_b32_e32 v91, 16, v58
	v_fmac_f16_e32 v73, v77, v56
	v_fma_f16 v56, v75, v56, -v84
	v_mul_f16_e32 v75, v71, v82
	v_fmac_f16_e32 v55, v71, v57
	v_mul_f16_e32 v71, v63, v91
	v_mul_f16_e32 v77, v74, v91
	s_wait_loadcnt 0x0
	v_lshrrev_b32_e32 v82, 16, v59
	v_fma_f16 v57, v83, v57, -v75
	v_lshrrev_b32_e32 v75, 16, v60
	v_fmac_f16_e32 v71, v74, v58
	v_fma_f16 v58, v63, v58, -v77
	s_wait_dscnt 0x0
	v_mul_f16_e32 v63, v97, v82
	v_mul_f16_e32 v74, v79, v82
	;; [unrolled: 1-line block ×4, first 2 shown]
	v_lshrrev_b32_e32 v82, 16, v61
	v_sub_f16_e32 v68, v88, v68
	v_fmac_f16_e32 v63, v79, v59
	v_fma_f16 v59, v97, v59, -v74
	v_fmac_f16_e32 v77, v81, v60
	v_fma_f16 v60, v86, v60, -v75
	v_mul_f16_e32 v74, v69, v82
	v_mul_f16_e32 v75, v89, v82
	v_fma_f16 v64, v64, 2.0, -v66
	v_fma_f16 v79, v88, 2.0, -v68
	v_sub_f16_e32 v65, v85, v65
	v_fmac_f16_e32 v74, v89, v61
	v_fma_f16 v61, v69, v61, -v75
	v_sub_f16_e32 v51, v95, v51
	v_sub_f16_e32 v75, v64, v79
	;; [unrolled: 1-line block ×5, first 2 shown]
	v_fma_f16 v80, v85, 2.0, -v65
	v_fma_f16 v81, v95, 2.0, -v51
	;; [unrolled: 1-line block ×4, first 2 shown]
	v_sub_f16_e32 v68, v47, v68
	v_sub_f16_e32 v54, v92, v54
	v_sub_f16_e32 v48, v53, v48
	v_sub_f16_e32 v82, v80, v82
	v_sub_f16_e32 v83, v81, v50
	v_fma_f16 v69, v87, 2.0, -v47
	v_fma_f16 v84, v47, 2.0, -v68
	v_sub_f16_e32 v79, v51, v79
	v_fma_f16 v47, v80, 2.0, -v82
	v_fma_f16 v80, v81, 2.0, -v83
	;; [unrolled: 1-line block ×5, first 2 shown]
	v_sub_f16_e32 v51, v76, v55
	v_sub_f16_e32 v70, v72, v70
	;; [unrolled: 1-line block ×5, first 2 shown]
	v_fma_f16 v57, v76, 2.0, -v51
	v_sub_f16_e32 v58, v56, v58
	v_fma_f16 v72, v72, 2.0, -v70
	v_sub_f16_e32 v70, v54, v70
	v_fma_f16 v71, v73, 2.0, -v53
	v_fma_f16 v67, v67, 2.0, -v55
	;; [unrolled: 1-line block ×3, first 2 shown]
	v_sub_f16_e32 v49, v14, v49
	v_fma_f16 v73, v81, 2.0, -v86
	v_sub_f16_e32 v71, v57, v71
	v_fma_f16 v76, v54, 2.0, -v70
	v_sub_f16_e32 v81, v67, v56
	v_sub_f16_e32 v56, v78, v77
	v_fma_f16 v14, v14, 2.0, -v49
	v_fma_f16 v54, v57, 2.0, -v71
	v_sub_f16_e32 v57, v12, v60
	v_sub_f16_e32 v60, v63, v74
	v_add_f16_e32 v49, v66, v49
	v_fma_f16 v74, v78, 2.0, -v56
	v_sub_f16_e32 v61, v59, v61
	v_sub_f16_e32 v77, v55, v53
	v_fma_f16 v63, v63, 2.0, -v60
	v_fma_f16 v50, v66, 2.0, -v49
	v_sub_f16_e32 v66, v10, v90
	v_sub_f16_e32 v87, v57, v60
	v_fma_f16 v12, v12, 2.0, -v57
	v_sub_f16_e32 v53, v74, v63
	v_fma_f16 v59, v59, 2.0, -v61
	v_fma_f16 v10, v10, 2.0, -v66
	;; [unrolled: 1-line block ×3, first 2 shown]
	v_add_f16_e32 v52, v65, v52
	v_fma_f16 v55, v74, 2.0, -v53
	v_fma_f16 v74, v57, 2.0, -v87
	s_wait_alu 0xf1ff
	v_cndmask_b32_e64 v57, 0, 0x140, s0
	v_sub_f16_e32 v72, v10, v72
	v_add_f16_e32 v48, v66, v48
	v_add_f16_e32 v58, v51, v58
	v_sub_f16_e32 v78, v12, v59
	v_add_f16_e32 v59, v56, v61
	v_add_nc_u32_e32 v57, 0, v57
	v_lshlrev_b32_e32 v60, 1, v62
	v_fma_f16 v64, v64, 2.0, -v75
	v_fma_f16 v65, v65, 2.0, -v52
	;; [unrolled: 1-line block ×6, first 2 shown]
	v_add3_u32 v8, v57, v60, v8
	global_wb scope:SCOPE_SE
	s_barrier_signal -1
	s_barrier_wait -1
	global_inv scope:SCOPE_SE
	ds_store_b16 v38, v64
	ds_store_b16 v38, v50 offset:80
	ds_store_b16 v38, v75 offset:160
	ds_store_b16 v38, v49 offset:240
	ds_store_b16 v42, v47
	ds_store_b16 v42, v65 offset:80
	ds_store_b16 v42, v82 offset:160
	ds_store_b16 v42, v52 offset:240
	;; [unrolled: 4-line block ×3, first 2 shown]
	ds_store_b16 v38, v54 offset:336
	ds_store_b16 v38, v51 offset:416
	;; [unrolled: 1-line block ×8, first 2 shown]
	global_wb scope:SCOPE_SE
	s_wait_dscnt 0x0
	s_barrier_signal -1
	s_barrier_wait -1
	global_inv scope:SCOPE_SE
	ds_load_u16 v47, v36
	ds_load_u16 v48, v40
	ds_load_u16 v57, v38 offset:384
	ds_load_u16 v59, v38 offset:416
	;; [unrolled: 1-line block ×6, first 2 shown]
	ds_load_u16 v49, v37
	ds_load_u16 v54, v46
	;; [unrolled: 1-line block ×4, first 2 shown]
	ds_load_u16 v63, v38 offset:512
	ds_load_u16 v64, v38 offset:544
	;; [unrolled: 1-line block ×3, first 2 shown]
	ds_load_u16 v56, v43
	ds_load_u16 v52, v39
	;; [unrolled: 1-line block ×4, first 2 shown]
	ds_load_u16 v66, v38 offset:608
	v_sub_f16_e32 v14, v69, v14
	v_fma_f16 v67, v67, 2.0, -v81
	v_fma_f16 v12, v12, 2.0, -v78
	global_wb scope:SCOPE_SE
	s_wait_dscnt 0x0
	s_barrier_signal -1
	v_fma_f16 v69, v69, 2.0, -v14
	s_barrier_wait -1
	global_inv scope:SCOPE_SE
	ds_store_b16 v38, v69
	ds_store_b16 v38, v84 offset:80
	ds_store_b16 v38, v14 offset:160
	ds_store_b16 v38, v68 offset:240
	ds_store_b16 v42, v80
	ds_store_b16 v42, v85 offset:80
	ds_store_b16 v42, v83 offset:160
	ds_store_b16 v42, v79 offset:240
	;; [unrolled: 4-line block ×3, first 2 shown]
	ds_store_b16 v38, v67 offset:336
	ds_store_b16 v38, v88 offset:416
	;; [unrolled: 1-line block ×8, first 2 shown]
	global_wb scope:SCOPE_SE
	s_wait_dscnt 0x0
	s_barrier_signal -1
	s_barrier_wait -1
	global_inv scope:SCOPE_SE
	s_and_saveexec_b32 s0, vcc_lo
	s_cbranch_execz .LBB0_15
; %bb.14:
	v_mov_b32_e32 v8, v15
	v_mov_b32_e32 v14, v15
	;; [unrolled: 1-line block ×4, first 2 shown]
	s_delay_alu instid0(VALU_DEP_4) | instskip(SKIP_2) | instid1(VALU_DEP_2)
	v_lshlrev_b64_e32 v[67:68], 2, v[7:8]
	v_mov_b32_e32 v7, v15
	v_lshlrev_b64_e32 v[13:14], 2, v[13:14]
	v_lshlrev_b64_e32 v[69:70], 2, v[6:7]
	v_mov_b32_e32 v6, v15
	s_delay_alu instid0(VALU_DEP_3) | instskip(SKIP_1) | instid1(VALU_DEP_4)
	v_add_co_u32 v13, vcc_lo, s4, v13
	s_wait_alu 0xfffd
	v_add_co_ci_u32_e32 v14, vcc_lo, s5, v14, vcc_lo
	s_delay_alu instid0(VALU_DEP_3) | instskip(SKIP_2) | instid1(VALU_DEP_2)
	v_lshlrev_b64_e32 v[6:7], 2, v[5:6]
	v_mov_b32_e32 v5, v15
	v_lshlrev_b64_e32 v[11:12], 2, v[11:12]
	v_lshlrev_b64_e32 v[71:72], 2, v[4:5]
	v_mov_b32_e32 v4, v15
	s_delay_alu instid0(VALU_DEP_3) | instskip(SKIP_1) | instid1(VALU_DEP_4)
	v_add_co_u32 v11, vcc_lo, s4, v11
	s_wait_alu 0xfffd
	v_add_co_ci_u32_e32 v12, vcc_lo, s5, v12, vcc_lo
	s_delay_alu instid0(VALU_DEP_3) | instskip(SKIP_2) | instid1(VALU_DEP_2)
	v_lshlrev_b64_e32 v[4:5], 2, v[3:4]
	v_mov_b32_e32 v3, v15
	v_lshlrev_b64_e32 v[9:10], 2, v[9:10]
	v_lshlrev_b64_e32 v[2:3], 2, v[2:3]
	s_delay_alu instid0(VALU_DEP_2) | instskip(SKIP_1) | instid1(VALU_DEP_3)
	v_add_co_u32 v8, vcc_lo, s4, v9
	s_wait_alu 0xfffd
	v_add_co_ci_u32_e32 v9, vcc_lo, s5, v10, vcc_lo
	v_add_co_u32 v67, vcc_lo, s4, v67
	s_wait_alu 0xfffd
	v_add_co_ci_u32_e32 v68, vcc_lo, s5, v68, vcc_lo
	;; [unrolled: 3-line block ×4, first 2 shown]
	s_clause 0x5
	global_load_b32 v82, v[13:14], off offset:600
	global_load_b32 v83, v[11:12], off offset:600
	;; [unrolled: 1-line block ×6, first 2 shown]
	v_add_co_u32 v6, vcc_lo, s4, v71
	s_wait_alu 0xfffd
	v_add_co_ci_u32_e32 v7, vcc_lo, s5, v72, vcc_lo
	v_add_co_u32 v4, vcc_lo, s4, v4
	s_wait_alu 0xfffd
	v_add_co_ci_u32_e32 v5, vcc_lo, s5, v5, vcc_lo
	;; [unrolled: 3-line block ×3, first 2 shown]
	global_load_b32 v88, v[6:7], off offset:600
	v_mad_co_u64_u32 v[67:68], null, s8, v22, 0
	v_lshlrev_b32_e32 v6, 2, v28
	s_clause 0x2
	global_load_b32 v89, v[4:5], off offset:600
	global_load_b32 v90, v[2:3], off offset:600
	global_load_b32 v91, v6, s[4:5] offset:600
	v_add_co_u32 v104, vcc_lo, s10, v0
	ds_load_u16 v92, v43
	ds_load_u16 v93, v39
	;; [unrolled: 1-line block ×4, first 2 shown]
	ds_load_u16 v96, v38 offset:608
	ds_load_u16 v97, v38 offset:576
	;; [unrolled: 1-line block ×4, first 2 shown]
	ds_load_u16 v100, v46
	ds_load_u16 v101, v45
	;; [unrolled: 1-line block ×4, first 2 shown]
	v_mad_co_u64_u32 v[2:3], null, s8, v28, 0
	v_mad_co_u64_u32 v[4:5], null, s8, v25, 0
	;; [unrolled: 1-line block ×3, first 2 shown]
	s_wait_alu 0xfffd
	v_add_co_ci_u32_e32 v105, vcc_lo, s11, v1, vcc_lo
	v_mad_co_u64_u32 v[0:1], null, s8, v34, 0
	v_mad_co_u64_u32 v[6:7], null, s8, v35, 0
	;; [unrolled: 1-line block ×9, first 2 shown]
	v_mov_b32_e32 v3, v42
	v_mad_co_u64_u32 v[74:75], null, s9, v34, v[1:2]
	v_mad_co_u64_u32 v[34:35], null, s9, v35, v[7:8]
	v_mov_b32_e32 v7, v68
	v_mad_co_u64_u32 v[69:70], null, s8, v29, 0
	v_mad_co_u64_u32 v[75:76], null, s9, v25, v[5:6]
	;; [unrolled: 1-line block ×5, first 2 shown]
	v_mov_b32_e32 v1, v44
	v_mov_b32_e32 v5, v46
	v_mad_co_u64_u32 v[79:80], null, s9, v22, v[7:8]
	v_mad_co_u64_u32 v[71:72], null, s8, v21, 0
	;; [unrolled: 1-line block ×3, first 2 shown]
	v_dual_mov_b32 v3, v73 :: v_dual_mov_b32 v40, v77
	v_mad_co_u64_u32 v[14:15], null, s8, v33, 0
	v_mad_co_u64_u32 v[27:28], null, s9, v27, v[9:10]
	s_delay_alu instid0(VALU_DEP_4)
	v_dual_mov_b32 v9, v70 :: v_dual_mov_b32 v22, v81
	v_mad_co_u64_u32 v[23:24], null, s9, v23, v[1:2]
	v_mad_co_u64_u32 v[30:31], null, s9, v31, v[5:6]
	v_dual_mov_b32 v1, v74 :: v_dual_mov_b32 v42, v78
	v_lshlrev_b64_e32 v[2:3], 2, v[2:3]
	v_mov_b32_e32 v5, v75
	v_mad_co_u64_u32 v[28:29], null, s9, v29, v[9:10]
	v_dual_mov_b32 v46, v30 :: v_dual_mov_b32 v9, v72
	v_mov_b32_e32 v44, v23
	v_lshlrev_b64_e32 v[0:1], 2, v[0:1]
	v_dual_mov_b32 v7, v34 :: v_dual_mov_b32 v68, v79
	v_mad_co_u64_u32 v[25:26], null, s9, v26, v[13:14]
	v_mad_co_u64_u32 v[32:33], null, s9, v33, v[15:16]
	ds_load_u16 v106, v38 offset:480
	ds_load_u16 v107, v38 offset:448
	;; [unrolled: 1-line block ×6, first 2 shown]
	ds_load_u16 v37, v37
	ds_load_u16 v73, v36
	v_lshlrev_b64_e32 v[4:5], 2, v[4:5]
	v_add_co_u32 v2, vcc_lo, v104, v2
	v_mad_co_u64_u32 v[33:34], null, s9, v21, v[9:10]
	v_dual_mov_b32 v9, v27 :: v_dual_mov_b32 v70, v28
	s_wait_alu 0xfffd
	v_add_co_ci_u32_e32 v3, vcc_lo, v105, v3, vcc_lo
	v_lshlrev_b64_e32 v[6:7], 2, v[6:7]
	v_add_co_u32 v0, vcc_lo, v104, v0
	v_dual_mov_b32 v11, v76 :: v_dual_mov_b32 v72, v33
	s_wait_alu 0xfffd
	v_add_co_ci_u32_e32 v1, vcc_lo, v105, v1, vcc_lo
	v_lshlrev_b64_e32 v[8:9], 2, v[8:9]
	v_add_co_u32 v4, vcc_lo, v104, v4
	v_mov_b32_e32 v13, v25
	s_wait_alu 0xfffd
	v_add_co_ci_u32_e32 v5, vcc_lo, v105, v5, vcc_lo
	v_lshlrev_b64_e32 v[10:11], 2, v[10:11]
	v_add_co_u32 v6, vcc_lo, v104, v6
	v_mov_b32_e32 v15, v32
	s_wait_alu 0xfffd
	v_add_co_ci_u32_e32 v7, vcc_lo, v105, v7, vcc_lo
	v_lshlrev_b64_e32 v[12:13], 2, v[12:13]
	v_add_co_u32 v8, vcc_lo, v104, v8
	v_lshlrev_b64_e32 v[27:28], 2, v[43:44]
	v_lshlrev_b64_e32 v[29:30], 2, v[45:46]
	;; [unrolled: 1-line block ×4, first 2 shown]
	s_wait_alu 0xfffd
	v_add_co_ci_u32_e32 v9, vcc_lo, v105, v9, vcc_lo
	v_lshlrev_b64_e32 v[14:15], 2, v[14:15]
	v_add_co_u32 v10, vcc_lo, v104, v10
	s_wait_alu 0xfffd
	v_add_co_ci_u32_e32 v11, vcc_lo, v105, v11, vcc_lo
	v_lshlrev_b64_e32 v[23:24], 2, v[39:40]
	v_add_co_u32 v12, vcc_lo, v104, v12
	;; [unrolled: 4-line block ×3, first 2 shown]
	s_wait_alu 0xfffd
	v_add_co_ci_u32_e32 v15, vcc_lo, v105, v15, vcc_lo
	v_add_co_u32 v23, vcc_lo, v104, v23
	s_wait_alu 0xfffd
	v_add_co_ci_u32_e32 v24, vcc_lo, v105, v24, vcc_lo
	v_add_co_u32 v25, vcc_lo, v104, v25
	;; [unrolled: 3-line block ×3, first 2 shown]
	s_wait_alu 0xfffd
	v_add_co_ci_u32_e32 v28, vcc_lo, v105, v28, vcc_lo
	v_mad_co_u64_u32 v[35:36], null, s8, v17, 0
	v_add_co_u32 v29, vcc_lo, v104, v29
	s_wait_alu 0xfffd
	v_add_co_ci_u32_e32 v30, vcc_lo, v105, v30, vcc_lo
	v_add_co_u32 v31, vcc_lo, v104, v31
	s_wait_alu 0xfffd
	v_add_co_ci_u32_e32 v32, vcc_lo, v105, v32, vcc_lo
	s_wait_loadcnt 0x9
	v_lshrrev_b32_e32 v21, 16, v82
	v_mul_f16_e32 v39, v66, v82
	s_wait_loadcnt 0x8
	v_lshrrev_b32_e32 v40, 16, v83
	s_wait_loadcnt 0x6
	v_lshrrev_b32_e32 v44, 16, v85
	v_mul_f16_e32 v45, v63, v85
	s_wait_loadcnt 0x5
	v_lshrrev_b32_e32 v46, 16, v86
	v_mul_f16_e32 v67, v62, v86
	;; [unrolled: 3-line block ×3, first 2 shown]
	s_wait_dscnt 0xc
	v_fmac_f16_e32 v45, v99, v44
	v_mul_f16_e32 v44, v63, v44
	s_wait_dscnt 0x7
	v_fmac_f16_e32 v67, v106, v46
	v_mul_f16_e32 v46, v62, v46
	v_mul_f16_e32 v61, v61, v68
	;; [unrolled: 1-line block ×3, first 2 shown]
	v_lshrrev_b32_e32 v42, 16, v84
	v_mul_f16_e32 v43, v64, v84
	s_wait_dscnt 0x6
	v_fmac_f16_e32 v69, v107, v68
	s_wait_loadcnt 0x3
	v_lshrrev_b32_e32 v70, 16, v88
	v_mul_f16_e32 v74, v59, v88
	v_fma_f16 v44, v99, v85, -v44
	v_sub_f16_e32 v62, v49, v67
	s_wait_loadcnt 0x2
	v_lshrrev_b32_e32 v75, 16, v89
	s_wait_loadcnt 0x1
	v_lshrrev_b32_e32 v77, 16, v90
	;; [unrolled: 2-line block ×3, first 2 shown]
	v_mul_f16_e32 v81, v58, v91
	v_mul_f16_e32 v78, v60, v90
	;; [unrolled: 1-line block ×7, first 2 shown]
	s_wait_dscnt 0x2
	v_fmac_f16_e32 v81, v38, v79
	v_fmac_f16_e32 v78, v110, v77
	v_fma_f16 v38, v38, v91, -v58
	v_fma_f16 v60, v110, v90, -v60
	v_fmac_f16_e32 v76, v109, v75
	v_fma_f16 v57, v109, v89, -v57
	v_fmac_f16_e32 v74, v108, v70
	v_fma_f16 v46, v106, v86, -v46
	v_fma_f16 v61, v107, v87, -v61
	;; [unrolled: 1-line block ×3, first 2 shown]
	v_sub_f16_e32 v67, v47, v81
	s_wait_dscnt 0x0
	v_sub_f16_e32 v38, v73, v38
	v_fmac_f16_e32 v39, v96, v21
	v_mul_f16_e32 v21, v66, v21
	v_sub_f16_e32 v66, v51, v78
	v_sub_f16_e32 v60, v95, v60
	v_fmac_f16_e32 v41, v97, v40
	v_mul_f16_e32 v40, v65, v40
	v_sub_f16_e32 v65, v52, v76
	;; [unrolled: 4-line block ×3, first 2 shown]
	v_sub_f16_e32 v63, v50, v69
	v_sub_f16_e32 v64, v48, v74
	;; [unrolled: 1-line block ×6, first 2 shown]
	v_fma_f16 v47, v47, 2.0, -v67
	v_fma_f16 v73, v73, 2.0, -v38
	;; [unrolled: 1-line block ×14, first 2 shown]
	v_pack_b32_f16 v47, v47, v73
	v_pack_b32_f16 v38, v67, v38
	;; [unrolled: 1-line block ×3, first 2 shown]
	v_fma_f16 v42, v98, v84, -v42
	v_pack_b32_f16 v60, v66, v60
	v_pack_b32_f16 v52, v52, v76
	;; [unrolled: 1-line block ×10, first 2 shown]
	s_clause 0xc
	global_store_b32 v[2:3], v47, off
	global_store_b32 v[0:1], v38, off
	;; [unrolled: 1-line block ×13, first 2 shown]
	v_mad_co_u64_u32 v[6:7], null, s8, v19, 0
	v_mad_co_u64_u32 v[4:5], null, s9, v20, v[22:23]
	v_sub_f16_e32 v43, v56, v43
	v_sub_f16_e32 v42, v92, v42
	v_mov_b32_e32 v5, v36
	v_lshlrev_b64_e32 v[2:3], 2, v[71:72]
	v_add_co_u32 v0, vcc_lo, v104, v33
	v_fma_f16 v56, v56, 2.0, -v43
	v_fma_f16 v69, v92, 2.0, -v42
	v_mad_co_u64_u32 v[8:9], null, s9, v17, v[5:6]
	v_mad_co_u64_u32 v[9:10], null, s8, v16, 0
	s_wait_alu 0xfffd
	v_add_co_ci_u32_e32 v1, vcc_lo, v105, v34, vcc_lo
	v_add_co_u32 v2, vcc_lo, v104, v2
	v_mov_b32_e32 v5, v7
	v_pack_b32_f16 v11, v45, v44
	s_wait_alu 0xfffd
	v_add_co_ci_u32_e32 v3, vcc_lo, v105, v3, vcc_lo
	v_pack_b32_f16 v12, v56, v69
	v_mov_b32_e32 v81, v4
	v_mad_co_u64_u32 v[4:5], null, s9, v19, v[5:6]
	s_clause 0x1
	global_store_b32 v[0:1], v11, off
	global_store_b32 v[2:3], v12, off
	v_mov_b32_e32 v2, v10
	v_mad_co_u64_u32 v[11:12], null, s8, v18, 0
	v_mov_b32_e32 v36, v8
	v_lshlrev_b64_e32 v[0:1], 2, v[80:81]
	s_delay_alu instid0(VALU_DEP_4) | instskip(SKIP_1) | instid1(VALU_DEP_4)
	v_mad_co_u64_u32 v[2:3], null, s9, v16, v[2:3]
	v_mov_b32_e32 v7, v4
	v_lshlrev_b64_e32 v[4:5], 2, v[35:36]
	v_mov_b32_e32 v3, v12
	v_fma_f16 v40, v97, v83, -v40
	v_fma_f16 v21, v96, v82, -v21
	v_add_co_u32 v0, vcc_lo, v104, v0
	v_mov_b32_e32 v10, v2
	v_mad_co_u64_u32 v[12:13], null, s9, v18, v[3:4]
	s_wait_alu 0xfffd
	v_add_co_ci_u32_e32 v1, vcc_lo, v105, v1, vcc_lo
	v_lshlrev_b64_e32 v[6:7], 2, v[6:7]
	v_sub_f16_e32 v41, v53, v41
	v_sub_f16_e32 v40, v102, v40
	v_add_co_u32 v2, vcc_lo, v104, v4
	v_sub_f16_e32 v39, v54, v39
	v_sub_f16_e32 v21, v100, v21
	s_wait_alu 0xfffd
	v_add_co_ci_u32_e32 v3, vcc_lo, v105, v5, vcc_lo
	v_lshlrev_b64_e32 v[4:5], 2, v[9:10]
	v_fma_f16 v53, v53, 2.0, -v41
	v_fma_f16 v68, v102, 2.0, -v40
	v_add_co_u32 v6, vcc_lo, v104, v6
	v_lshlrev_b64_e32 v[8:9], 2, v[11:12]
	v_fma_f16 v54, v54, 2.0, -v39
	v_fma_f16 v61, v100, 2.0, -v21
	s_wait_alu 0xfffd
	v_add_co_ci_u32_e32 v7, vcc_lo, v105, v7, vcc_lo
	v_add_co_u32 v4, vcc_lo, v104, v4
	v_pack_b32_f16 v14, v43, v42
	v_pack_b32_f16 v13, v53, v68
	s_wait_alu 0xfffd
	v_add_co_ci_u32_e32 v5, vcc_lo, v105, v5, vcc_lo
	v_pack_b32_f16 v10, v41, v40
	v_add_co_u32 v8, vcc_lo, v104, v8
	v_pack_b32_f16 v11, v54, v61
	s_wait_alu 0xfffd
	v_add_co_ci_u32_e32 v9, vcc_lo, v105, v9, vcc_lo
	v_pack_b32_f16 v12, v39, v21
	s_clause 0x4
	global_store_b32 v[0:1], v14, off
	global_store_b32 v[2:3], v13, off
	;; [unrolled: 1-line block ×5, first 2 shown]
.LBB0_15:
	s_nop 0
	s_sendmsg sendmsg(MSG_DEALLOC_VGPRS)
	s_endpgm
	.section	.rodata,"a",@progbits
	.p2align	6, 0x0
	.amdhsa_kernel fft_rtc_back_len320_factors_10_4_4_2_wgs_64_tpt_16_halfLds_half_ip_CI_sbrr_dirReg
		.amdhsa_group_segment_fixed_size 0
		.amdhsa_private_segment_fixed_size 0
		.amdhsa_kernarg_size 88
		.amdhsa_user_sgpr_count 2
		.amdhsa_user_sgpr_dispatch_ptr 0
		.amdhsa_user_sgpr_queue_ptr 0
		.amdhsa_user_sgpr_kernarg_segment_ptr 1
		.amdhsa_user_sgpr_dispatch_id 0
		.amdhsa_user_sgpr_private_segment_size 0
		.amdhsa_wavefront_size32 1
		.amdhsa_uses_dynamic_stack 0
		.amdhsa_enable_private_segment 0
		.amdhsa_system_sgpr_workgroup_id_x 1
		.amdhsa_system_sgpr_workgroup_id_y 0
		.amdhsa_system_sgpr_workgroup_id_z 0
		.amdhsa_system_sgpr_workgroup_info 0
		.amdhsa_system_vgpr_workitem_id 0
		.amdhsa_next_free_vgpr 111
		.amdhsa_next_free_sgpr 35
		.amdhsa_reserve_vcc 1
		.amdhsa_float_round_mode_32 0
		.amdhsa_float_round_mode_16_64 0
		.amdhsa_float_denorm_mode_32 3
		.amdhsa_float_denorm_mode_16_64 3
		.amdhsa_fp16_overflow 0
		.amdhsa_workgroup_processor_mode 1
		.amdhsa_memory_ordered 1
		.amdhsa_forward_progress 0
		.amdhsa_round_robin_scheduling 0
		.amdhsa_exception_fp_ieee_invalid_op 0
		.amdhsa_exception_fp_denorm_src 0
		.amdhsa_exception_fp_ieee_div_zero 0
		.amdhsa_exception_fp_ieee_overflow 0
		.amdhsa_exception_fp_ieee_underflow 0
		.amdhsa_exception_fp_ieee_inexact 0
		.amdhsa_exception_int_div_zero 0
	.end_amdhsa_kernel
	.text
.Lfunc_end0:
	.size	fft_rtc_back_len320_factors_10_4_4_2_wgs_64_tpt_16_halfLds_half_ip_CI_sbrr_dirReg, .Lfunc_end0-fft_rtc_back_len320_factors_10_4_4_2_wgs_64_tpt_16_halfLds_half_ip_CI_sbrr_dirReg
                                        ; -- End function
	.section	.AMDGPU.csdata,"",@progbits
; Kernel info:
; codeLenInByte = 11804
; NumSgprs: 37
; NumVgprs: 111
; ScratchSize: 0
; MemoryBound: 0
; FloatMode: 240
; IeeeMode: 1
; LDSByteSize: 0 bytes/workgroup (compile time only)
; SGPRBlocks: 4
; VGPRBlocks: 13
; NumSGPRsForWavesPerEU: 37
; NumVGPRsForWavesPerEU: 111
; Occupancy: 12
; WaveLimiterHint : 1
; COMPUTE_PGM_RSRC2:SCRATCH_EN: 0
; COMPUTE_PGM_RSRC2:USER_SGPR: 2
; COMPUTE_PGM_RSRC2:TRAP_HANDLER: 0
; COMPUTE_PGM_RSRC2:TGID_X_EN: 1
; COMPUTE_PGM_RSRC2:TGID_Y_EN: 0
; COMPUTE_PGM_RSRC2:TGID_Z_EN: 0
; COMPUTE_PGM_RSRC2:TIDIG_COMP_CNT: 0
	.text
	.p2alignl 7, 3214868480
	.fill 96, 4, 3214868480
	.type	__hip_cuid_a08ee345bea07282,@object ; @__hip_cuid_a08ee345bea07282
	.section	.bss,"aw",@nobits
	.globl	__hip_cuid_a08ee345bea07282
__hip_cuid_a08ee345bea07282:
	.byte	0                               ; 0x0
	.size	__hip_cuid_a08ee345bea07282, 1

	.ident	"AMD clang version 19.0.0git (https://github.com/RadeonOpenCompute/llvm-project roc-6.4.0 25133 c7fe45cf4b819c5991fe208aaa96edf142730f1d)"
	.section	".note.GNU-stack","",@progbits
	.addrsig
	.addrsig_sym __hip_cuid_a08ee345bea07282
	.amdgpu_metadata
---
amdhsa.kernels:
  - .args:
      - .actual_access:  read_only
        .address_space:  global
        .offset:         0
        .size:           8
        .value_kind:     global_buffer
      - .offset:         8
        .size:           8
        .value_kind:     by_value
      - .actual_access:  read_only
        .address_space:  global
        .offset:         16
        .size:           8
        .value_kind:     global_buffer
      - .actual_access:  read_only
        .address_space:  global
        .offset:         24
        .size:           8
        .value_kind:     global_buffer
      - .offset:         32
        .size:           8
        .value_kind:     by_value
      - .actual_access:  read_only
        .address_space:  global
        .offset:         40
        .size:           8
        .value_kind:     global_buffer
      - .actual_access:  read_only
        .address_space:  global
        .offset:         48
        .size:           8
        .value_kind:     global_buffer
      - .offset:         56
        .size:           4
        .value_kind:     by_value
      - .actual_access:  read_only
        .address_space:  global
        .offset:         64
        .size:           8
        .value_kind:     global_buffer
      - .actual_access:  read_only
        .address_space:  global
        .offset:         72
        .size:           8
        .value_kind:     global_buffer
      - .address_space:  global
        .offset:         80
        .size:           8
        .value_kind:     global_buffer
    .group_segment_fixed_size: 0
    .kernarg_segment_align: 8
    .kernarg_segment_size: 88
    .language:       OpenCL C
    .language_version:
      - 2
      - 0
    .max_flat_workgroup_size: 64
    .name:           fft_rtc_back_len320_factors_10_4_4_2_wgs_64_tpt_16_halfLds_half_ip_CI_sbrr_dirReg
    .private_segment_fixed_size: 0
    .sgpr_count:     37
    .sgpr_spill_count: 0
    .symbol:         fft_rtc_back_len320_factors_10_4_4_2_wgs_64_tpt_16_halfLds_half_ip_CI_sbrr_dirReg.kd
    .uniform_work_group_size: 1
    .uses_dynamic_stack: false
    .vgpr_count:     111
    .vgpr_spill_count: 0
    .wavefront_size: 32
    .workgroup_processor_mode: 1
amdhsa.target:   amdgcn-amd-amdhsa--gfx1201
amdhsa.version:
  - 1
  - 2
...

	.end_amdgpu_metadata
